;; amdgpu-corpus repo=ROCm/rocFFT kind=compiled arch=gfx1030 opt=O3
	.text
	.amdgcn_target "amdgcn-amd-amdhsa--gfx1030"
	.amdhsa_code_object_version 6
	.protected	fft_rtc_back_len2880_factors_10_6_6_2_2_2_wgs_96_tpt_96_halfLds_half_ip_CI_unitstride_sbrr_R2C_dirReg ; -- Begin function fft_rtc_back_len2880_factors_10_6_6_2_2_2_wgs_96_tpt_96_halfLds_half_ip_CI_unitstride_sbrr_R2C_dirReg
	.globl	fft_rtc_back_len2880_factors_10_6_6_2_2_2_wgs_96_tpt_96_halfLds_half_ip_CI_unitstride_sbrr_R2C_dirReg
	.p2align	8
	.type	fft_rtc_back_len2880_factors_10_6_6_2_2_2_wgs_96_tpt_96_halfLds_half_ip_CI_unitstride_sbrr_R2C_dirReg,@function
fft_rtc_back_len2880_factors_10_6_6_2_2_2_wgs_96_tpt_96_halfLds_half_ip_CI_unitstride_sbrr_R2C_dirReg: ; @fft_rtc_back_len2880_factors_10_6_6_2_2_2_wgs_96_tpt_96_halfLds_half_ip_CI_unitstride_sbrr_R2C_dirReg
; %bb.0:
	s_clause 0x2
	s_load_dwordx4 s[8:11], s[4:5], 0x0
	s_load_dwordx2 s[2:3], s[4:5], 0x50
	s_load_dwordx2 s[12:13], s[4:5], 0x18
	v_mul_u32_u24_e32 v1, 0x2ab, v0
	v_mov_b32_e32 v3, 0
	v_add_nc_u32_sdwa v5, s6, v1 dst_sel:DWORD dst_unused:UNUSED_PAD src0_sel:DWORD src1_sel:WORD_1
	v_mov_b32_e32 v1, 0
	v_mov_b32_e32 v6, v3
	v_mov_b32_e32 v2, 0
	s_waitcnt lgkmcnt(0)
	v_cmp_lt_u64_e64 s0, s[10:11], 2
	s_and_b32 vcc_lo, exec_lo, s0
	s_cbranch_vccnz .LBB0_8
; %bb.1:
	s_load_dwordx2 s[0:1], s[4:5], 0x10
	v_mov_b32_e32 v1, 0
	s_add_u32 s6, s12, 8
	v_mov_b32_e32 v2, 0
	s_addc_u32 s7, s13, 0
	s_mov_b64 s[16:17], 1
	s_waitcnt lgkmcnt(0)
	s_add_u32 s14, s0, 8
	s_addc_u32 s15, s1, 0
.LBB0_2:                                ; =>This Inner Loop Header: Depth=1
	s_load_dwordx2 s[18:19], s[14:15], 0x0
                                        ; implicit-def: $vgpr7_vgpr8
	s_mov_b32 s0, exec_lo
	s_waitcnt lgkmcnt(0)
	v_or_b32_e32 v4, s19, v6
	v_cmpx_ne_u64_e32 0, v[3:4]
	s_xor_b32 s1, exec_lo, s0
	s_cbranch_execz .LBB0_4
; %bb.3:                                ;   in Loop: Header=BB0_2 Depth=1
	v_cvt_f32_u32_e32 v4, s18
	v_cvt_f32_u32_e32 v7, s19
	s_sub_u32 s0, 0, s18
	s_subb_u32 s20, 0, s19
	v_fmac_f32_e32 v4, 0x4f800000, v7
	v_rcp_f32_e32 v4, v4
	v_mul_f32_e32 v4, 0x5f7ffffc, v4
	v_mul_f32_e32 v7, 0x2f800000, v4
	v_trunc_f32_e32 v7, v7
	v_fmac_f32_e32 v4, 0xcf800000, v7
	v_cvt_u32_f32_e32 v7, v7
	v_cvt_u32_f32_e32 v4, v4
	v_mul_lo_u32 v8, s0, v7
	v_mul_hi_u32 v9, s0, v4
	v_mul_lo_u32 v10, s20, v4
	v_add_nc_u32_e32 v8, v9, v8
	v_mul_lo_u32 v9, s0, v4
	v_add_nc_u32_e32 v8, v8, v10
	v_mul_hi_u32 v10, v4, v9
	v_mul_lo_u32 v11, v4, v8
	v_mul_hi_u32 v12, v4, v8
	v_mul_hi_u32 v13, v7, v9
	v_mul_lo_u32 v9, v7, v9
	v_mul_hi_u32 v14, v7, v8
	v_mul_lo_u32 v8, v7, v8
	v_add_co_u32 v10, vcc_lo, v10, v11
	v_add_co_ci_u32_e32 v11, vcc_lo, 0, v12, vcc_lo
	v_add_co_u32 v9, vcc_lo, v10, v9
	v_add_co_ci_u32_e32 v9, vcc_lo, v11, v13, vcc_lo
	v_add_co_ci_u32_e32 v10, vcc_lo, 0, v14, vcc_lo
	v_add_co_u32 v8, vcc_lo, v9, v8
	v_add_co_ci_u32_e32 v9, vcc_lo, 0, v10, vcc_lo
	v_add_co_u32 v4, vcc_lo, v4, v8
	v_add_co_ci_u32_e32 v7, vcc_lo, v7, v9, vcc_lo
	v_mul_hi_u32 v8, s0, v4
	v_mul_lo_u32 v10, s20, v4
	v_mul_lo_u32 v9, s0, v7
	v_add_nc_u32_e32 v8, v8, v9
	v_mul_lo_u32 v9, s0, v4
	v_add_nc_u32_e32 v8, v8, v10
	v_mul_hi_u32 v10, v4, v9
	v_mul_lo_u32 v11, v4, v8
	v_mul_hi_u32 v12, v4, v8
	v_mul_hi_u32 v13, v7, v9
	v_mul_lo_u32 v9, v7, v9
	v_mul_hi_u32 v14, v7, v8
	v_mul_lo_u32 v8, v7, v8
	v_add_co_u32 v10, vcc_lo, v10, v11
	v_add_co_ci_u32_e32 v11, vcc_lo, 0, v12, vcc_lo
	v_add_co_u32 v9, vcc_lo, v10, v9
	v_add_co_ci_u32_e32 v9, vcc_lo, v11, v13, vcc_lo
	v_add_co_ci_u32_e32 v10, vcc_lo, 0, v14, vcc_lo
	v_add_co_u32 v8, vcc_lo, v9, v8
	v_add_co_ci_u32_e32 v9, vcc_lo, 0, v10, vcc_lo
	v_add_co_u32 v4, vcc_lo, v4, v8
	v_add_co_ci_u32_e32 v11, vcc_lo, v7, v9, vcc_lo
	v_mul_hi_u32 v13, v5, v4
	v_mad_u64_u32 v[9:10], null, v6, v4, 0
	v_mad_u64_u32 v[7:8], null, v5, v11, 0
	;; [unrolled: 1-line block ×3, first 2 shown]
	v_add_co_u32 v4, vcc_lo, v13, v7
	v_add_co_ci_u32_e32 v7, vcc_lo, 0, v8, vcc_lo
	v_add_co_u32 v4, vcc_lo, v4, v9
	v_add_co_ci_u32_e32 v4, vcc_lo, v7, v10, vcc_lo
	v_add_co_ci_u32_e32 v7, vcc_lo, 0, v12, vcc_lo
	v_add_co_u32 v4, vcc_lo, v4, v11
	v_add_co_ci_u32_e32 v9, vcc_lo, 0, v7, vcc_lo
	v_mul_lo_u32 v10, s19, v4
	v_mad_u64_u32 v[7:8], null, s18, v4, 0
	v_mul_lo_u32 v11, s18, v9
	v_sub_co_u32 v7, vcc_lo, v5, v7
	v_add3_u32 v8, v8, v11, v10
	v_sub_nc_u32_e32 v10, v6, v8
	v_subrev_co_ci_u32_e64 v10, s0, s19, v10, vcc_lo
	v_add_co_u32 v11, s0, v4, 2
	v_add_co_ci_u32_e64 v12, s0, 0, v9, s0
	v_sub_co_u32 v13, s0, v7, s18
	v_sub_co_ci_u32_e32 v8, vcc_lo, v6, v8, vcc_lo
	v_subrev_co_ci_u32_e64 v10, s0, 0, v10, s0
	v_cmp_le_u32_e32 vcc_lo, s18, v13
	v_cmp_eq_u32_e64 s0, s19, v8
	v_cndmask_b32_e64 v13, 0, -1, vcc_lo
	v_cmp_le_u32_e32 vcc_lo, s19, v10
	v_cndmask_b32_e64 v14, 0, -1, vcc_lo
	v_cmp_le_u32_e32 vcc_lo, s18, v7
	;; [unrolled: 2-line block ×3, first 2 shown]
	v_cndmask_b32_e64 v15, 0, -1, vcc_lo
	v_cmp_eq_u32_e32 vcc_lo, s19, v10
	v_cndmask_b32_e64 v7, v15, v7, s0
	v_cndmask_b32_e32 v10, v14, v13, vcc_lo
	v_add_co_u32 v13, vcc_lo, v4, 1
	v_add_co_ci_u32_e32 v14, vcc_lo, 0, v9, vcc_lo
	v_cmp_ne_u32_e32 vcc_lo, 0, v10
	v_cndmask_b32_e32 v8, v14, v12, vcc_lo
	v_cndmask_b32_e32 v10, v13, v11, vcc_lo
	v_cmp_ne_u32_e32 vcc_lo, 0, v7
	v_cndmask_b32_e32 v8, v9, v8, vcc_lo
	v_cndmask_b32_e32 v7, v4, v10, vcc_lo
.LBB0_4:                                ;   in Loop: Header=BB0_2 Depth=1
	s_andn2_saveexec_b32 s0, s1
	s_cbranch_execz .LBB0_6
; %bb.5:                                ;   in Loop: Header=BB0_2 Depth=1
	v_cvt_f32_u32_e32 v4, s18
	s_sub_i32 s1, 0, s18
	v_rcp_iflag_f32_e32 v4, v4
	v_mul_f32_e32 v4, 0x4f7ffffe, v4
	v_cvt_u32_f32_e32 v4, v4
	v_mul_lo_u32 v7, s1, v4
	v_mul_hi_u32 v7, v4, v7
	v_add_nc_u32_e32 v4, v4, v7
	v_mul_hi_u32 v4, v5, v4
	v_mul_lo_u32 v7, v4, s18
	v_add_nc_u32_e32 v8, 1, v4
	v_sub_nc_u32_e32 v7, v5, v7
	v_subrev_nc_u32_e32 v9, s18, v7
	v_cmp_le_u32_e32 vcc_lo, s18, v7
	v_cndmask_b32_e32 v7, v7, v9, vcc_lo
	v_cndmask_b32_e32 v4, v4, v8, vcc_lo
	v_cmp_le_u32_e32 vcc_lo, s18, v7
	v_add_nc_u32_e32 v8, 1, v4
	v_cndmask_b32_e32 v7, v4, v8, vcc_lo
	v_mov_b32_e32 v8, v3
.LBB0_6:                                ;   in Loop: Header=BB0_2 Depth=1
	s_or_b32 exec_lo, exec_lo, s0
	s_load_dwordx2 s[0:1], s[6:7], 0x0
	v_mul_lo_u32 v4, v8, s18
	v_mul_lo_u32 v11, v7, s19
	v_mad_u64_u32 v[9:10], null, v7, s18, 0
	s_add_u32 s16, s16, 1
	s_addc_u32 s17, s17, 0
	s_add_u32 s6, s6, 8
	s_addc_u32 s7, s7, 0
	;; [unrolled: 2-line block ×3, first 2 shown]
	v_add3_u32 v4, v10, v11, v4
	v_sub_co_u32 v5, vcc_lo, v5, v9
	v_sub_co_ci_u32_e32 v4, vcc_lo, v6, v4, vcc_lo
	s_waitcnt lgkmcnt(0)
	v_mul_lo_u32 v6, s1, v5
	v_mul_lo_u32 v4, s0, v4
	v_mad_u64_u32 v[1:2], null, s0, v5, v[1:2]
	v_cmp_ge_u64_e64 s0, s[16:17], s[10:11]
	s_and_b32 vcc_lo, exec_lo, s0
	v_add3_u32 v2, v6, v2, v4
	s_cbranch_vccnz .LBB0_9
; %bb.7:                                ;   in Loop: Header=BB0_2 Depth=1
	v_mov_b32_e32 v5, v7
	v_mov_b32_e32 v6, v8
	s_branch .LBB0_2
.LBB0_8:
	v_mov_b32_e32 v8, v6
	v_mov_b32_e32 v7, v5
.LBB0_9:
	s_lshl_b64 s[0:1], s[10:11], 3
	v_mul_hi_u32 v3, 0x2aaaaab, v0
	s_add_u32 s0, s12, s0
	s_addc_u32 s1, s13, s1
	s_load_dwordx2 s[4:5], s[4:5], 0x20
	s_load_dwordx2 s[0:1], s[0:1], 0x0
                                        ; implicit-def: $vgpr90
                                        ; implicit-def: $vgpr88
                                        ; implicit-def: $vgpr45
                                        ; implicit-def: $vgpr84
                                        ; implicit-def: $vgpr80
                                        ; implicit-def: $vgpr86
                                        ; implicit-def: $vgpr82
                                        ; implicit-def: $vgpr78
                                        ; implicit-def: $vgpr47
                                        ; implicit-def: $vgpr76_vgpr77
                                        ; implicit-def: $vgpr68_vgpr69
                                        ; implicit-def: $vgpr66_vgpr67
                                        ; implicit-def: $vgpr64_vgpr65
                                        ; implicit-def: $vgpr62_vgpr63
                                        ; implicit-def: $vgpr60_vgpr61
                                        ; implicit-def: $vgpr58_vgpr59
                                        ; implicit-def: $vgpr56_vgpr57
                                        ; implicit-def: $vgpr54_vgpr55
	v_mul_u32_u24_e32 v3, 0x60, v3
	v_sub_nc_u32_e32 v22, v0, v3
	v_add_nc_u32_e32 v50, 0x60, v22
	v_add_nc_u32_e32 v52, 0xc0, v22
	;; [unrolled: 1-line block ×5, first 2 shown]
	s_waitcnt lgkmcnt(0)
	v_cmp_gt_u64_e32 vcc_lo, s[4:5], v[7:8]
	v_mul_lo_u32 v3, s0, v8
	v_mul_lo_u32 v4, s1, v7
	v_mad_u64_u32 v[0:1], null, s0, v7, v[1:2]
	v_cmp_le_u64_e64 s0, s[4:5], v[7:8]
	v_or_b32_e32 v72, 0x180, v22
	v_add_nc_u32_e32 v20, 0x240, v22
	v_add_nc_u32_e32 v42, 0x2a0, v22
	v_or_b32_e32 v40, 0x300, v22
	v_add_nc_u32_e32 v38, 0x360, v22
	v_add_nc_u32_e32 v32, 0x420, v22
	v_or_b32_e32 v30, 0x480, v22
	v_add_nc_u32_e32 v26, 0x4e0, v22
	v_add3_u32 v1, v4, v1, v3
	v_add_nc_u32_e32 v28, 0x540, v22
	s_and_saveexec_b32 s1, s0
	s_xor_b32 s0, exec_lo, s1
	s_cbranch_execz .LBB0_11
; %bb.10:
	v_mov_b32_e32 v23, 0
	v_add_nc_u32_e32 v90, 0x3c0, v22
	v_add_nc_u32_e32 v88, 0x240, v22
	v_or_b32_e32 v84, 0x300, v22
	v_add_nc_u32_e32 v80, 0x360, v22
	v_add_nc_u32_e32 v86, 0x420, v22
	v_or_b32_e32 v82, 0x480, v22
	v_add_nc_u32_e32 v78, 0x4e0, v22
	v_mov_b32_e32 v46, v23
	v_mov_b32_e32 v48, v23
	v_add_nc_u32_e32 v45, 0x2a0, v22
	v_add_nc_u32_e32 v47, 0x540, v22
	v_mov_b32_e32 v89, v23
	v_mov_b32_e32 v85, v23
	;; [unrolled: 1-line block ×16, first 2 shown]
	v_add_nc_u32_e32 v50, 0x60, v22
	v_add_nc_u32_e32 v52, 0xc0, v22
	v_add_nc_u32_e32 v70, 0x1e0, v22
	v_add_nc_u32_e32 v74, 0x120, v22
	v_or_b32_e32 v72, 0x180, v22
	v_mov_b32_e32 v51, v23
	v_mov_b32_e32 v53, v23
	;; [unrolled: 1-line block ×14, first 2 shown]
.LBB0_11:
	s_or_saveexec_b32 s1, s0
	v_lshlrev_b64 v[48:49], 2, v[0:1]
	v_or_b32_e32 v46, 0x600, v22
	v_or_b32_e32 v44, 0x780, v22
	;; [unrolled: 1-line block ×4, first 2 shown]
	s_xor_b32 exec_lo, exec_lo, s1
	s_cbranch_execz .LBB0_13
; %bb.12:
	v_mov_b32_e32 v23, 0
	v_add_co_u32 v21, s0, s2, v48
	v_add_co_ci_u32_e64 v27, s0, s3, v49, s0
	v_lshlrev_b64 v[0:1], 2, v[22:23]
	v_mov_b32_e32 v41, v23
	v_mov_b32_e32 v31, v23
	;; [unrolled: 1-line block ×5, first 2 shown]
	v_add_co_u32 v0, s0, v21, v0
	v_add_co_ci_u32_e64 v1, s0, v27, v1, s0
	v_lshlrev_b64 v[2:3], 2, v[40:41]
	v_add_co_u32 v14, s0, 0x800, v0
	v_add_co_ci_u32_e64 v15, s0, 0, v1, s0
	v_lshlrev_b64 v[4:5], 2, v[30:31]
	;; [unrolled: 3-line block ×3, first 2 shown]
	v_add_co_u32 v16, s0, 0x1000, v0
	v_add_co_ci_u32_e64 v17, s0, 0, v1, s0
	v_add_co_u32 v4, s0, v21, v4
	v_add_co_ci_u32_e64 v5, s0, v27, v5, s0
	v_lshlrev_b64 v[8:9], 2, v[44:45]
	v_add_co_u32 v6, s0, v21, v6
	v_mov_b32_e32 v25, v23
	v_add_co_ci_u32_e64 v7, s0, v27, v7, s0
	v_lshlrev_b64 v[10:11], 2, v[36:37]
	v_add_co_u32 v18, s0, 0x1800, v0
	v_add_co_ci_u32_e64 v19, s0, 0, v1, s0
	v_lshlrev_b64 v[12:13], 2, v[24:25]
	v_add_co_u32 v8, s0, v21, v8
	v_add_co_ci_u32_e64 v9, s0, v27, v9, s0
	v_add_co_u32 v10, s0, v21, v10
	v_add_co_ci_u32_e64 v11, s0, v27, v11, s0
	;; [unrolled: 2-line block ×3, first 2 shown]
	s_clause 0xd
	global_load_dword v25, v[0:1], off offset:768
	global_load_dword v37, v[0:1], off offset:1152
	;; [unrolled: 1-line block ×8, first 2 shown]
	global_load_dword v91, v[4:5], off
	global_load_dword v92, v[16:17], off offset:1664
	global_load_dword v93, v[14:15], off offset:1408
	global_load_dword v16, v[16:17], off offset:128
	global_load_dword v17, v[2:3], off
	global_load_dword v14, v[14:15], off offset:1792
	v_add_co_u32 v2, s0, 0x2000, v0
	v_add_co_ci_u32_e64 v3, s0, 0, v1, s0
	v_add_co_u32 v4, s0, 0x2800, v0
	v_add_co_ci_u32_e64 v5, s0, 0, v1, s0
	s_clause 0xf
	global_load_dword v6, v[6:7], off
	global_load_dword v7, v[18:19], off offset:384
	global_load_dword v15, v[18:19], off offset:768
	;; [unrolled: 1-line block ×5, first 2 shown]
	global_load_dword v8, v[8:9], off
	global_load_dword v9, v[18:19], off offset:1920
	global_load_dword v18, v[0:1], off
	global_load_dword v19, v[4:5], off offset:896
	global_load_dword v12, v[12:13], off
	global_load_dword v4, v[4:5], off offset:128
	global_load_dword v5, v[10:11], off
	global_load_dword v10, v[2:3], off offset:1408
	global_load_dword v0, v[0:1], off offset:384
	global_load_dword v1, v[2:3], off offset:1792
	v_mov_b32_e32 v21, v23
	v_mov_b32_e32 v43, v23
	;; [unrolled: 1-line block ×7, first 2 shown]
	v_lshl_add_u32 v2, v22, 2, 0
	v_mov_b32_e32 v55, v29
	v_mov_b32_e32 v57, v27
	;; [unrolled: 1-line block ×18, first 2 shown]
	v_add_nc_u32_e32 v3, 0x200, v2
	v_mov_b32_e32 v51, v23
	v_mov_b32_e32 v53, v23
	;; [unrolled: 1-line block ×14, first 2 shown]
	v_add_nc_u32_e32 v11, 0x400, v2
	v_add_nc_u32_e32 v13, 0x800, v2
	;; [unrolled: 1-line block ×13, first 2 shown]
	s_waitcnt vmcnt(28)
	ds_write2_b32 v3, v25, v37 offset0:64 offset1:160
	s_waitcnt vmcnt(26)
	ds_write2_b32 v11, v79, v81 offset0:128 offset1:224
	;; [unrolled: 2-line block ×3, first 2 shown]
	s_waitcnt vmcnt(17)
	ds_write2_b32 v97, v17, v93 offset1:96
	s_waitcnt vmcnt(16)
	ds_write2_b32 v98, v14, v16 offset0:64 offset1:160
	ds_write2_b32 v99, v91, v87 offset0:128 offset1:224
	;; [unrolled: 1-line block ×3, first 2 shown]
	s_waitcnt vmcnt(14)
	ds_write2_b32 v101, v6, v7 offset1:96
	s_waitcnt vmcnt(12)
	ds_write2_b32 v102, v15, v94 offset0:64 offset1:160
	s_waitcnt vmcnt(8)
	ds_write2_b32 v103, v8, v9 offset0:128 offset1:224
	ds_write2_b32 v104, v95, v96 offset0:64 offset1:160
	s_waitcnt vmcnt(2)
	ds_write2_b32 v105, v5, v10 offset1:96
	s_waitcnt vmcnt(1)
	ds_write2_b32 v2, v18, v0 offset1:96
	s_waitcnt vmcnt(0)
	ds_write2_b32 v106, v1, v4 offset0:64 offset1:160
	ds_write2_b32 v107, v12, v19 offset0:128 offset1:224
.LBB0_13:
	s_or_b32 exec_lo, exec_lo, s1
	v_lshlrev_b32_e32 v21, 2, v22
	s_waitcnt lgkmcnt(0)
	s_barrier
	buffer_gl0_inv
	v_cmp_gt_u32_e64 s0, 60, v22
	v_add_nc_u32_e32 v25, 0, v21
	v_lshlrev_b64 v[68:69], 2, v[68:69]
	v_lshlrev_b64 v[66:67], 2, v[66:67]
	;; [unrolled: 1-line block ×4, first 2 shown]
	v_add_nc_u32_e32 v0, 0x800, v25
	v_add_nc_u32_e32 v29, 0x1c00, v25
	v_add_nc_u32_e32 v89, 0x1a00, v25
	v_add_nc_u32_e32 v35, 0x2600, v25
	v_add_nc_u32_e32 v27, 0x2400, v25
	v_add_nc_u32_e32 v8, 0xc00, v25
	v_add_nc_u32_e32 v98, 0x1000, v25
	v_add_nc_u32_e32 v93, 0x1400, v25
	ds_read2_b32 v[4:5], v0 offset0:64 offset1:160
	ds_read2_b32 v[0:1], v89 offset0:64 offset1:160
	ds_read2_b32 v[2:3], v27 offset1:96
	ds_read2_b32 v[6:7], v98 offset0:128 offset1:224
	ds_read2_b32 v[10:11], v25 offset1:96
	ds_read2_b32 v[12:13], v29 offset0:128 offset1:224
	ds_read2_b32 v[14:15], v35 offset0:64 offset1:160
	ds_read2_b32 v[16:17], v8 offset1:96
	v_add_nc_u32_e32 v8, 0x200, v25
	ds_read2_b32 v[18:19], v93 offset0:64 offset1:160
	ds_read2_b32 v[8:9], v8 offset0:64 offset1:160
	v_lshlrev_b64 v[60:61], 2, v[60:61]
	v_sub_nc_u32_e32 v21, 0, v21
	s_add_u32 s1, s8, 0x2cd8
	s_addc_u32 s4, s9, 0
	s_mov_b32 s5, exec_lo
	s_waitcnt lgkmcnt(7)
	v_sub_f16_e32 v33, v2, v0
	s_waitcnt lgkmcnt(6)
	v_sub_f16_e32 v37, v4, v6
	v_sub_f16_sdwa v39, v4, v6 dst_sel:DWORD dst_unused:UNUSED_PAD src0_sel:WORD_1 src1_sel:WORD_1
	v_sub_f16_sdwa v41, v2, v0 dst_sel:DWORD dst_unused:UNUSED_PAD src0_sel:WORD_1 src1_sel:WORD_1
	v_add_f16_e32 v122, v4, v2
	s_waitcnt lgkmcnt(5)
	v_lshrrev_b32_e32 v31, 16, v10
	v_add_f16_e32 v33, v37, v33
	s_waitcnt lgkmcnt(1)
	v_add_f16_sdwa v87, v19, v13 dst_sel:DWORD dst_unused:UNUSED_PAD src0_sel:WORD_1 src1_sel:WORD_1
	s_waitcnt lgkmcnt(0)
	v_lshrrev_b32_e32 v103, 16, v9
	v_pk_add_f16 v37, v10, v4
	v_sub_f16_sdwa v81, v17, v19 dst_sel:DWORD dst_unused:UNUSED_PAD src0_sel:WORD_1 src1_sel:WORD_1
	v_sub_f16_sdwa v83, v15, v13 dst_sel:DWORD dst_unused:UNUSED_PAD src0_sel:WORD_1 src1_sel:WORD_1
	v_add_f16_e32 v39, v39, v41
	v_fma_f16 v108, -0.5, v87, v103
	v_add_f16_e32 v87, v6, v0
	v_pk_add_f16 v41, v9, v17
	v_pk_add_f16 v37, v37, v6
	v_sub_f16_e32 v123, v6, v4
	v_add_f16_sdwa v91, v6, v0 dst_sel:DWORD dst_unused:UNUSED_PAD src0_sel:WORD_1 src1_sel:WORD_1
	v_fma_f16 v112, -0.5, v87, v10
	v_fma_f16 v10, -0.5, v122, v10
	v_sub_f16_e32 v122, v0, v2
	v_sub_f16_sdwa v109, v4, v2 dst_sel:DWORD dst_unused:UNUSED_PAD src0_sel:WORD_1 src1_sel:WORD_1
	v_sub_f16_sdwa v110, v6, v0 dst_sel:DWORD dst_unused:UNUSED_PAD src0_sel:WORD_1 src1_sel:WORD_1
	v_sub_f16_e32 v111, v4, v2
	v_add_f16_e32 v81, v81, v83
	v_sub_f16_e32 v83, v6, v0
	v_pk_add_f16 v41, v41, v19
	v_pk_add_f16 v37, v37, v0
	v_add_f16_e32 v122, v123, v122
	v_add_f16_sdwa v123, v4, v2 dst_sel:DWORD dst_unused:UNUSED_PAD src0_sel:WORD_1 src1_sel:WORD_1
	v_sub_f16_sdwa v4, v6, v4 dst_sel:DWORD dst_unused:UNUSED_PAD src0_sel:WORD_1 src1_sel:WORD_1
	v_sub_f16_sdwa v0, v0, v2 dst_sel:DWORD dst_unused:UNUSED_PAD src0_sel:WORD_1 src1_sel:WORD_1
	v_add_f16_sdwa v6, v17, v15 dst_sel:DWORD dst_unused:UNUSED_PAD src0_sel:WORD_1 src1_sel:WORD_1
	v_add_f16_e32 v85, v19, v13
	v_sub_f16_e32 v105, v19, v13
	v_pk_add_f16 v41, v41, v13
	v_add_f16_e32 v0, v4, v0
	v_add_f16_e32 v4, v17, v15
	v_fmac_f16_e32 v103, -0.5, v6
	v_sub_f16_e32 v104, v17, v15
	v_sub_f16_sdwa v106, v17, v15 dst_sel:DWORD dst_unused:UNUSED_PAD src0_sel:WORD_1 src1_sel:WORD_1
	v_fma_f16 v85, -0.5, v85, v9
	v_sub_f16_e32 v43, v15, v13
	v_sub_f16_sdwa v107, v19, v13 dst_sel:DWORD dst_unused:UNUSED_PAD src0_sel:WORD_1 src1_sel:WORD_1
	v_pk_add_f16 v121, v41, v15
	v_sub_f16_e32 v6, v13, v15
	v_fma_f16 v4, -0.5, v4, v9
	v_sub_f16_sdwa v9, v19, v17 dst_sel:DWORD dst_unused:UNUSED_PAD src0_sel:WORD_1 src1_sel:WORD_1
	v_sub_f16_sdwa v13, v13, v15 dst_sel:DWORD dst_unused:UNUSED_PAD src0_sel:WORD_1 src1_sel:WORD_1
	v_fmamk_f16 v15, v105, 0xbb9c, v103
	v_fma_f16 v113, -0.5, v91, v31
	v_fmac_f16_e32 v31, -0.5, v123
	v_fmac_f16_e32 v103, 0x3b9c, v105
	v_sub_f16_e32 v79, v17, v19
	v_fmamk_f16 v92, v104, 0x3b9c, v108
	v_fmamk_f16 v94, v106, 0xbb9c, v85
	v_sub_f16_e32 v17, v19, v17
	v_fmamk_f16 v19, v107, 0x3b9c, v4
	v_fmac_f16_e32 v4, 0xbb9c, v107
	v_add_f16_e32 v9, v9, v13
	v_fmac_f16_e32 v15, 0x38b4, v104
	v_fmac_f16_e32 v108, 0xbb9c, v104
	v_pk_add_f16 v120, v37, v2
	v_fmamk_f16 v2, v83, 0xbb9c, v31
	v_fmac_f16_e32 v31, 0x3b9c, v83
	v_fmac_f16_e32 v103, 0xb8b4, v104
	;; [unrolled: 1-line block ×3, first 2 shown]
	v_add_f16_e32 v43, v79, v43
	v_fmac_f16_e32 v94, 0xb8b4, v107
	v_add_f16_e32 v6, v17, v6
	v_fmac_f16_e32 v4, 0x38b4, v106
	v_fmac_f16_e32 v19, 0xb8b4, v106
	;; [unrolled: 1-line block ×5, first 2 shown]
	v_fmamk_f16 v124, v110, 0x3b9c, v10
	v_fmac_f16_e32 v10, 0xbb9c, v110
	v_fmac_f16_e32 v2, 0x38b4, v111
	;; [unrolled: 1-line block ×6, first 2 shown]
	v_fmamk_f16 v114, v109, 0xbb9c, v112
	v_fmamk_f16 v116, v111, 0x3b9c, v113
	v_fmac_f16_e32 v4, 0x34f2, v6
	v_fmac_f16_e32 v19, 0x34f2, v6
	v_mul_f16_e32 v6, 0xbb9c, v15
	v_mul_f16_e32 v13, 0x34f2, v15
	v_fmac_f16_e32 v112, 0x3b9c, v109
	v_fmac_f16_e32 v113, 0xbb9c, v111
	;; [unrolled: 1-line block ×8, first 2 shown]
	v_mul_f16_e32 v0, 0xbb9c, v103
	v_mul_f16_e32 v9, 0xb4f2, v103
	;; [unrolled: 1-line block ×4, first 2 shown]
	v_fmac_f16_e32 v114, 0xb8b4, v110
	v_fmac_f16_e32 v116, 0x38b4, v83
	;; [unrolled: 1-line block ×7, first 2 shown]
	v_mul_f16_e32 v19, 0xb8b4, v108
	v_mul_f16_e32 v43, 0xba79, v108
	v_fmac_f16_e32 v124, 0x34f2, v122
	v_fmac_f16_e32 v10, 0x34f2, v122
	;; [unrolled: 1-line block ×8, first 2 shown]
	v_mul_u32_u24_e32 v91, 10, v22
	v_fmac_f16_e32 v112, 0x34f2, v33
	v_fmac_f16_e32 v113, 0x34f2, v39
	;; [unrolled: 1-line block ×4, first 2 shown]
	v_add_f16_e32 v4, v10, v0
	v_add_f16_e32 v15, v31, v9
	;; [unrolled: 1-line block ×6, first 2 shown]
	v_lshl_add_u32 v119, v91, 2, 0
	v_add_nc_u32_e32 v91, 0x400, v25
	v_sub_f16_e32 v0, v10, v0
	v_sub_f16_e32 v9, v31, v9
	v_add_f16_e32 v33, v112, v19
	v_add_f16_e32 v39, v113, v43
	v_pack_b32_f16 v4, v4, v15
	v_pack_b32_f16 v15, v17, v81
	v_sub_f16_e32 v81, v114, v115
	v_sub_f16_e32 v6, v124, v6
	;; [unrolled: 1-line block ×4, first 2 shown]
	v_pack_b32_f16 v118, v79, v87
	v_add_nc_u32_e32 v87, 0xe00, v25
	v_sub_f16_e32 v10, v112, v19
	v_sub_f16_e32 v19, v113, v43
	v_add_nc_u32_e32 v41, 0x1800, v25
	v_add_nc_u32_e32 v79, 0x2000, v25
	ds_read2_b32 v[91:92], v91 offset0:128 offset1:224
	v_pk_add_f16 v125, v120, v121
	v_pack_b32_f16 v0, v0, v9
	v_pk_add_f16 v9, v8, v16
	v_add_nc_u32_e32 v37, 0x2800, v25
	v_pk_add_f16 v17, v120, v121 neg_lo:[0,1] neg_hi:[0,1]
	v_pack_b32_f16 v31, v33, v39
	v_pack_b32_f16 v2, v6, v2
	;; [unrolled: 1-line block ×3, first 2 shown]
	ds_read2_b32 v[94:95], v87 offset0:64 offset1:160
	ds_read2_b32 v[96:97], v41 offset1:96
	ds_read2_b32 v[99:100], v79 offset0:64 offset1:160
	ds_read2_b32 v[101:102], v37 offset0:128 offset1:224
	v_pack_b32_f16 v10, v10, v19
	s_waitcnt lgkmcnt(0)
	s_barrier
	buffer_gl0_inv
	ds_write2_b32 v119, v125, v118 offset1:1
	ds_write2_b32 v119, v15, v4 offset0:2 offset1:3
	ds_write2_b32 v119, v31, v17 offset0:4 offset1:5
	;; [unrolled: 1-line block ×4, first 2 shown]
	v_pk_add_f16 v0, v9, v18
	v_pk_add_f16 v31, v11, v5
	v_add_f16_e32 v2, v18, v12
	v_sub_f16_sdwa v4, v18, v12 dst_sel:DWORD dst_unused:UNUSED_PAD src0_sel:WORD_1 src1_sel:WORD_1
	v_sub_f16_e32 v6, v16, v18
	v_pk_add_f16 v0, v0, v12
	v_sub_f16_e32 v9, v18, v16
	v_add_f16_sdwa v10, v18, v12 dst_sel:DWORD dst_unused:UNUSED_PAD src0_sel:WORD_1 src1_sel:WORD_1
	v_sub_f16_e32 v13, v18, v12
	v_sub_f16_sdwa v15, v16, v18 dst_sel:DWORD dst_unused:UNUSED_PAD src0_sel:WORD_1 src1_sel:WORD_1
	v_sub_f16_sdwa v17, v18, v16 dst_sel:DWORD dst_unused:UNUSED_PAD src0_sel:WORD_1 src1_sel:WORD_1
	;; [unrolled: 1-line block ×3, first 2 shown]
	v_add_f16_e32 v19, v16, v14
	v_sub_f16_e32 v39, v16, v14
	v_add_f16_sdwa v16, v16, v14 dst_sel:DWORD dst_unused:UNUSED_PAD src0_sel:WORD_1 src1_sel:WORD_1
	v_sub_f16_e32 v33, v14, v12
	v_sub_f16_e32 v43, v12, v14
	v_sub_f16_sdwa v81, v14, v12 dst_sel:DWORD dst_unused:UNUSED_PAD src0_sel:WORD_1 src1_sel:WORD_1
	v_sub_f16_sdwa v12, v12, v14 dst_sel:DWORD dst_unused:UNUSED_PAD src0_sel:WORD_1 src1_sel:WORD_1
	v_pk_add_f16 v0, v0, v14
	v_pk_add_f16 v14, v31, v7
	;; [unrolled: 1-line block ×4, first 2 shown]
	v_add_f16_e32 v31, v7, v1
	v_sub_f16_sdwa v83, v7, v1 dst_sel:DWORD dst_unused:UNUSED_PAD src0_sel:WORD_1 src1_sel:WORD_1
	v_pk_add_f16 v14, v14, v1
	v_sub_f16_e32 v85, v5, v7
	v_sub_f16_e32 v103, v7, v5
	v_add_f16_sdwa v104, v7, v1 dst_sel:DWORD dst_unused:UNUSED_PAD src0_sel:WORD_1 src1_sel:WORD_1
	v_sub_f16_e32 v105, v7, v1
	v_sub_f16_sdwa v106, v5, v7 dst_sel:DWORD dst_unused:UNUSED_PAD src0_sel:WORD_1 src1_sel:WORD_1
	v_sub_f16_sdwa v7, v7, v5 dst_sel:DWORD dst_unused:UNUSED_PAD src0_sel:WORD_1 src1_sel:WORD_1
	;; [unrolled: 1-line block ×3, first 2 shown]
	v_add_f16_e32 v108, v5, v3
	v_sub_f16_e32 v109, v5, v3
	v_add_f16_sdwa v5, v5, v3 dst_sel:DWORD dst_unused:UNUSED_PAD src0_sel:WORD_1 src1_sel:WORD_1
	v_sub_f16_e32 v110, v3, v1
	v_sub_f16_e32 v111, v1, v3
	v_sub_f16_sdwa v114, v3, v1 dst_sel:DWORD dst_unused:UNUSED_PAD src0_sel:WORD_1 src1_sel:WORD_1
	v_sub_f16_sdwa v1, v1, v3 dst_sel:DWORD dst_unused:UNUSED_PAD src0_sel:WORD_1 src1_sel:WORD_1
	v_pk_add_f16 v3, v14, v3
	v_pk_add_f16 v14, v112, v97
	;; [unrolled: 1-line block ×3, first 2 shown]
	v_add_f16_e32 v121, v96, v99
	v_sub_f16_sdwa v122, v96, v99 dst_sel:DWORD dst_unused:UNUSED_PAD src0_sel:WORD_1 src1_sel:WORD_1
	v_sub_f16_e32 v123, v94, v96
	v_sub_f16_e32 v124, v96, v94
	v_add_f16_sdwa v125, v96, v99 dst_sel:DWORD dst_unused:UNUSED_PAD src0_sel:WORD_1 src1_sel:WORD_1
	v_sub_f16_e32 v126, v96, v99
	v_sub_f16_sdwa v127, v94, v96 dst_sel:DWORD dst_unused:UNUSED_PAD src0_sel:WORD_1 src1_sel:WORD_1
	v_sub_f16_sdwa v96, v96, v94 dst_sel:DWORD dst_unused:UNUSED_PAD src0_sel:WORD_1 src1_sel:WORD_1
	;; [unrolled: 1-line block ×3, first 2 shown]
	v_add_f16_e32 v132, v94, v101
	v_sub_f16_e32 v133, v94, v101
	v_add_f16_sdwa v94, v94, v101 dst_sel:DWORD dst_unused:UNUSED_PAD src0_sel:WORD_1 src1_sel:WORD_1
	v_lshrrev_b32_e32 v134, 16, v91
	v_sub_f16_e32 v138, v101, v99
	v_lshrrev_b32_e32 v142, 16, v11
	v_pk_add_f16 v112, v112, v99
	v_fma_f16 v121, -0.5, v121, v91
	v_fma_f16 v125, -0.5, v125, v134
	v_fmac_f16_e32 v134, -0.5, v94
	v_sub_f16_sdwa v139, v101, v99 dst_sel:DWORD dst_unused:UNUSED_PAD src0_sel:WORD_1 src1_sel:WORD_1
	v_add_f16_e32 v123, v123, v138
	v_fma_f16 v138, -0.5, v31, v11
	v_fma_f16 v104, -0.5, v104, v142
	v_sub_f16_e32 v31, v99, v101
	v_sub_f16_sdwa v99, v99, v101 dst_sel:DWORD dst_unused:UNUSED_PAD src0_sel:WORD_1 src1_sel:WORD_1
	v_fmac_f16_e32 v142, -0.5, v5
	v_add_f16_e32 v1, v7, v1
	v_fma_f16 v7, -0.5, v132, v91
	v_fmamk_f16 v91, v126, 0xbb9c, v134
	v_fmac_f16_e32 v134, 0x3b9c, v126
	v_fmamk_f16 v140, v133, 0x3b9c, v125
	v_fmamk_f16 v141, v131, 0xbb9c, v121
	;; [unrolled: 1-line block ×3, first 2 shown]
	v_fmac_f16_e32 v142, 0x3b9c, v105
	v_add_f16_e32 v94, v96, v99
	v_fmamk_f16 v96, v122, 0x3b9c, v7
	v_fmac_f16_e32 v7, 0xbb9c, v122
	v_fmac_f16_e32 v134, 0xb8b4, v133
	v_add_f16_e32 v127, v127, v139
	v_fmac_f16_e32 v140, 0x38b4, v126
	v_fmac_f16_e32 v141, 0xb8b4, v122
	v_fma_f16 v11, -0.5, v108, v11
	v_fmac_f16_e32 v5, 0x38b4, v109
	v_fmac_f16_e32 v142, 0xb8b4, v109
	v_add_f16_e32 v31, v124, v31
	v_fmac_f16_e32 v7, 0x38b4, v131
	v_fmac_f16_e32 v134, 0x34f2, v94
	v_fmac_f16_e32 v91, 0x38b4, v133
	v_fmac_f16_e32 v125, 0xbb9c, v133
	v_add_f16_e32 v85, v85, v110
	v_fmac_f16_e32 v140, 0x34f2, v127
	v_fmac_f16_e32 v141, 0x34f2, v123
	v_fmamk_f16 v110, v107, 0xbb9c, v138
	v_fmamk_f16 v139, v109, 0x3b9c, v104
	;; [unrolled: 1-line block ×3, first 2 shown]
	v_fmac_f16_e32 v11, 0xbb9c, v83
	v_fmac_f16_e32 v5, 0x34f2, v1
	;; [unrolled: 1-line block ×5, first 2 shown]
	v_mul_f16_e32 v1, 0xbb9c, v134
	v_mul_f16_e32 v99, 0xb4f2, v134
	v_fmac_f16_e32 v91, 0x34f2, v94
	v_fmac_f16_e32 v121, 0x3b9c, v131
	;; [unrolled: 1-line block ×3, first 2 shown]
	v_add_f16_e32 v106, v106, v114
	v_mul_f16_e32 v114, 0xb8b4, v140
	v_mul_f16_e32 v143, 0x38b4, v141
	v_fmac_f16_e32 v110, 0xb8b4, v83
	v_fmac_f16_e32 v139, 0x38b4, v105
	v_add_f16_e32 v103, v103, v111
	v_fmac_f16_e32 v108, 0xb8b4, v107
	v_fmac_f16_e32 v11, 0x38b4, v107
	;; [unrolled: 1-line block ×5, first 2 shown]
	v_mul_f16_e32 v7, 0xbb9c, v91
	v_mul_f16_e32 v91, 0x34f2, v91
	v_fmac_f16_e32 v138, 0x3b9c, v107
	v_fmac_f16_e32 v104, 0xbb9c, v109
	;; [unrolled: 1-line block ×15, first 2 shown]
	v_mul_f16_e32 v83, 0xb8b4, v125
	v_mul_f16_e32 v105, 0xba79, v125
	v_add_f16_e32 v140, v110, v114
	v_add_f16_e32 v141, v139, v143
	v_mul_i32_i24_e32 v31, 10, v50
	v_pk_add_f16 v94, v112, v101
	v_add_f16_e32 v96, v11, v1
	v_add_f16_e32 v101, v142, v99
	;; [unrolled: 1-line block ×4, first 2 shown]
	v_fmac_f16_e32 v138, 0x34f2, v85
	v_fmac_f16_e32 v104, 0x34f2, v106
	;; [unrolled: 1-line block ×4, first 2 shown]
	v_add_f16_e32 v113, v97, v100
	v_add_f16_sdwa v118, v97, v100 dst_sel:DWORD dst_unused:UNUSED_PAD src0_sel:WORD_1 src1_sel:WORD_1
	v_pk_add_f16 v14, v14, v100
	v_pack_b32_f16 v111, v140, v141
	v_lshl_add_u32 v31, v31, 2, 0
	v_pk_add_f16 v85, v3, v94
	v_pack_b32_f16 v96, v96, v101
	v_pack_b32_f16 v101, v103, v107
	v_add_f16_e32 v103, v138, v83
	v_add_f16_e32 v106, v104, v105
	v_pk_add_f16 v3, v3, v94 neg_lo:[0,1] neg_hi:[0,1]
	v_lshrrev_b32_e32 v94, 16, v92
	v_sub_f16_sdwa v115, v97, v100 dst_sel:DWORD dst_unused:UNUSED_PAD src0_sel:WORD_1 src1_sel:WORD_1
	v_sub_f16_e32 v116, v95, v97
	v_sub_f16_e32 v117, v97, v95
	;; [unrolled: 1-line block ×3, first 2 shown]
	v_sub_f16_sdwa v120, v95, v97 dst_sel:DWORD dst_unused:UNUSED_PAD src0_sel:WORD_1 src1_sel:WORD_1
	v_sub_f16_sdwa v97, v97, v95 dst_sel:DWORD dst_unused:UNUSED_PAD src0_sel:WORD_1 src1_sel:WORD_1
	;; [unrolled: 1-line block ×3, first 2 shown]
	v_add_f16_e32 v129, v95, v102
	v_sub_f16_e32 v130, v95, v102
	v_add_f16_sdwa v95, v95, v102 dst_sel:DWORD dst_unused:UNUSED_PAD src0_sel:WORD_1 src1_sel:WORD_1
	v_sub_f16_e32 v135, v102, v100
	v_sub_f16_e32 v136, v100, v102
	v_sub_f16_sdwa v137, v102, v100 dst_sel:DWORD dst_unused:UNUSED_PAD src0_sel:WORD_1 src1_sel:WORD_1
	v_sub_f16_sdwa v100, v100, v102 dst_sel:DWORD dst_unused:UNUSED_PAD src0_sel:WORD_1 src1_sel:WORD_1
	v_pk_add_f16 v14, v14, v102
	ds_write2_b32 v31, v85, v111 offset1:1
	ds_write2_b32 v31, v101, v96 offset0:2 offset1:3
	v_pack_b32_f16 v85, v103, v106
	v_sub_f16_e32 v96, v110, v114
	v_sub_f16_e32 v7, v108, v7
	;; [unrolled: 1-line block ×4, first 2 shown]
	v_fma_f16 v101, -0.5, v118, v94
	v_fma_f16 v102, -0.5, v113, v92
	ds_write2_b32 v31, v85, v3 offset0:4 offset1:5
	v_pack_b32_f16 v3, v7, v5
	v_pack_b32_f16 v5, v96, v91
	v_fmamk_f16 v7, v130, 0x3b9c, v101
	v_fmamk_f16 v85, v128, 0xbb9c, v102
	v_lshrrev_b32_e32 v91, 16, v8
	v_add_f16_e32 v96, v116, v135
	v_add_f16_e32 v103, v120, v137
	v_fmac_f16_e32 v7, 0x38b4, v119
	v_fmac_f16_e32 v85, 0xb8b4, v115
	v_fma_f16 v2, -0.5, v2, v8
	v_fma_f16 v10, -0.5, v10, v91
	v_add_f16_e32 v6, v6, v33
	v_fmac_f16_e32 v7, 0x34f2, v103
	v_fmac_f16_e32 v85, 0x34f2, v96
	v_fmamk_f16 v106, v18, 0xbb9c, v2
	v_fmamk_f16 v107, v39, 0x3b9c, v10
	v_add_f16_e32 v15, v15, v81
	v_mul_f16_e32 v81, 0xb8b4, v7
	v_mul_f16_e32 v108, 0x38b4, v85
	v_fmac_f16_e32 v106, 0xb8b4, v4
	v_fmac_f16_e32 v107, 0x38b4, v13
	v_sub_f16_e32 v1, v11, v1
	v_fmac_f16_e32 v81, 0x3a79, v85
	v_fmac_f16_e32 v108, 0x3a79, v7
	;; [unrolled: 1-line block ×4, first 2 shown]
	v_sub_f16_e32 v7, v138, v83
	v_sub_f16_e32 v11, v104, v105
	v_sub_f16_e32 v33, v142, v99
	v_add_f16_e32 v83, v106, v81
	v_add_f16_e32 v85, v107, v108
	ds_write2_b32 v31, v5, v3 offset0:6 offset1:7
	v_mul_i32_i24_e32 v3, 10, v52
	v_pack_b32_f16 v5, v7, v11
	v_pack_b32_f16 v1, v1, v33
	;; [unrolled: 1-line block ×3, first 2 shown]
	v_fmac_f16_e32 v2, 0x3b9c, v18
	v_lshl_add_u32 v33, v3, 2, 0
	v_pk_add_f16 v3, v0, v14
	v_fma_f16 v8, -0.5, v19, v8
	v_fmac_f16_e32 v94, -0.5, v95
	ds_write2_b32 v31, v1, v5 offset0:8 offset1:9
	v_fmac_f16_e32 v2, 0x38b4, v4
	v_fma_f16 v1, -0.5, v129, v92
	ds_write2_b32 v33, v3, v7 offset1:1
	v_fmamk_f16 v3, v4, 0x3b9c, v8
	v_fmac_f16_e32 v8, 0xbb9c, v4
	v_fmac_f16_e32 v91, -0.5, v16
	v_fmamk_f16 v7, v119, 0xbb9c, v94
	v_fmac_f16_e32 v2, 0x34f2, v6
	v_add_f16_e32 v4, v9, v43
	v_fmac_f16_e32 v3, 0xb8b4, v18
	v_fmac_f16_e32 v8, 0x38b4, v18
	v_fmamk_f16 v5, v13, 0xbb9c, v91
	v_fmac_f16_e32 v91, 0x3b9c, v13
	v_fmamk_f16 v6, v115, 0x3b9c, v1
	v_add_f16_e32 v11, v97, v100
	v_fmac_f16_e32 v7, 0x38b4, v130
	v_fmac_f16_e32 v3, 0x34f2, v4
	;; [unrolled: 1-line block ×3, first 2 shown]
	v_add_f16_e32 v4, v17, v12
	v_fmac_f16_e32 v5, 0x38b4, v39
	v_fmac_f16_e32 v91, 0xb8b4, v39
	v_add_f16_e32 v9, v117, v136
	v_fmac_f16_e32 v6, 0xb8b4, v128
	v_fmac_f16_e32 v94, 0x3b9c, v119
	;; [unrolled: 1-line block ×11, first 2 shown]
	v_mul_f16_e32 v4, 0xbb9c, v7
	v_fmac_f16_e32 v102, 0x38b4, v115
	v_fmac_f16_e32 v1, 0x38b4, v128
	;; [unrolled: 1-line block ×4, first 2 shown]
	v_mul_f16_e32 v7, 0x34f2, v7
	v_fmac_f16_e32 v4, 0x34f2, v6
	v_fmac_f16_e32 v10, 0xbb9c, v39
	v_fmac_f16_e32 v102, 0x34f2, v96
	v_fmac_f16_e32 v1, 0x34f2, v9
	v_mul_f16_e32 v9, 0xbb9c, v94
	v_mul_f16_e32 v12, 0xb8b4, v101
	v_fmac_f16_e32 v7, 0x3b9c, v6
	v_add_f16_e32 v6, v3, v4
	v_sub_f16_e32 v3, v3, v4
	v_and_b32_e32 v4, 0xff, v22
	v_fmac_f16_e32 v10, 0xb8b4, v13
	v_mul_f16_e32 v11, 0xb4f2, v94
	v_mul_f16_e32 v13, 0xba79, v101
	v_fmac_f16_e32 v9, 0xb4f2, v1
	v_fmac_f16_e32 v12, 0xba79, v102
	v_mul_lo_u16 v4, 0xcd, v4
	v_fmac_f16_e32 v10, 0x34f2, v15
	v_fmac_f16_e32 v11, 0x3b9c, v1
	;; [unrolled: 1-line block ×3, first 2 shown]
	v_add_f16_e32 v15, v8, v9
	v_sub_f16_e32 v8, v8, v9
	v_add_f16_e32 v9, v2, v12
	v_sub_f16_e32 v2, v2, v12
	v_sub_f16_e32 v12, v107, v108
	v_lshrrev_b16 v107, 11, v4
	v_add_f16_e32 v16, v5, v7
	v_sub_f16_e32 v5, v5, v7
	v_add_f16_e32 v7, v91, v11
	v_sub_f16_e32 v4, v91, v11
	;; [unrolled: 2-line block ×3, first 2 shown]
	v_mul_lo_u16 v13, v107, 10
	v_sub_f16_e32 v1, v106, v81
	v_pack_b32_f16 v7, v15, v7
	v_pack_b32_f16 v6, v6, v16
	v_pk_add_f16 v0, v0, v14 neg_lo:[0,1] neg_hi:[0,1]
	v_pack_b32_f16 v9, v9, v11
	v_sub_nc_u16 v108, v22, v13
	v_mov_b32_e32 v94, 5
	v_and_b32_e32 v95, 0xff, v50
	v_pack_b32_f16 v3, v3, v5
	v_pack_b32_f16 v1, v1, v12
	;; [unrolled: 1-line block ×4, first 2 shown]
	ds_write2_b32 v33, v6, v7 offset0:2 offset1:3
	v_mul_u32_u24_sdwa v5, v108, v94 dst_sel:DWORD dst_unused:UNUSED_PAD src0_sel:BYTE_0 src1_sel:DWORD
	ds_write2_b32 v33, v9, v0 offset0:4 offset1:5
	ds_write2_b32 v33, v1, v3 offset0:6 offset1:7
	;; [unrolled: 1-line block ×3, first 2 shown]
	v_mul_lo_u16 v4, 0xcd, v95
	s_waitcnt lgkmcnt(0)
	s_barrier
	v_lshlrev_b32_e32 v39, 2, v5
	buffer_gl0_inv
	v_lshrrev_b16 v105, 11, v4
	v_mov_b32_e32 v12, 0xcccd
	v_lshl_add_u32 v83, v74, 2, 0
	global_load_dwordx4 v[0:3], v39, s[8:9]
	v_mad_i32_i24 v97, 0xffffffdc, v50, v31
	v_mul_lo_u16 v4, v105, 10
	v_mul_u32_u24_sdwa v5, v52, v12 dst_sel:DWORD dst_unused:UNUSED_PAD src0_sel:WORD_0 src1_sel:DWORD
	v_mul_u32_u24_sdwa v9, v74, v12 dst_sel:DWORD dst_unused:UNUSED_PAD src0_sel:WORD_0 src1_sel:DWORD
	;; [unrolled: 1-line block ×3, first 2 shown]
	v_add_nc_u32_e32 v101, 0x80, v25
	v_sub_nc_u16 v106, v50, v4
	v_lshrrev_b32_e32 v103, 19, v5
	v_lshrrev_b32_e32 v96, 19, v9
	;; [unrolled: 1-line block ×3, first 2 shown]
	v_mul_u32_u24_sdwa v4, v106, v94 dst_sel:DWORD dst_unused:UNUSED_PAD src0_sel:BYTE_0 src1_sel:DWORD
	v_mul_lo_u16 v8, v103, 10
	v_mul_lo_u16 v13, v96, 10
	;; [unrolled: 1-line block ×3, first 2 shown]
	v_mul_u32_u24_e32 v103, 0xf0, v103
	v_lshlrev_b32_e32 v43, 2, v4
	v_sub_nc_u16 v104, v52, v8
	v_sub_nc_u16 v102, v74, v13
	;; [unrolled: 1-line block ×3, first 2 shown]
	v_mul_u32_u24_e32 v96, 0xf0, v96
	global_load_dwordx4 v[4:7], v43, s[8:9]
	v_mul_u32_u24_sdwa v8, v104, v94 dst_sel:DWORD dst_unused:UNUSED_PAD src0_sel:WORD_0 src1_sel:DWORD
	v_mul_u32_u24_sdwa v13, v102, v94 dst_sel:DWORD dst_unused:UNUSED_PAD src0_sel:WORD_0 src1_sel:DWORD
	;; [unrolled: 1-line block ×3, first 2 shown]
	v_lshlrev_b32_e32 v81, 2, v8
	v_lshlrev_b32_e32 v85, 2, v13
	;; [unrolled: 1-line block ×3, first 2 shown]
	s_clause 0x5
	global_load_dwordx4 v[8:11], v81, s[8:9]
	global_load_dwordx4 v[12:15], v85, s[8:9]
	;; [unrolled: 1-line block ×3, first 2 shown]
	global_load_dword v100, v39, s[8:9] offset:16
	global_load_dword v110, v43, s[8:9] offset:16
	;; [unrolled: 1-line block ×3, first 2 shown]
	v_lshl_add_u32 v43, v70, 2, 0
	v_lshl_add_u32 v39, v90, 2, 0
	;; [unrolled: 1-line block ×3, first 2 shown]
	ds_read_b32 v99, v43
	ds_read_b32 v119, v39
	ds_read2_b32 v[113:114], v93 offset0:64 offset1:160
	ds_read_b32 v123, v83
	ds_read_b32 v111, v81
	;; [unrolled: 1-line block ×3, first 2 shown]
	s_clause 0x1
	global_load_dword v125, v85, s[8:9] offset:16
	global_load_dword v112, v112, s[8:9] offset:16
	ds_read2_b32 v[115:116], v29 offset0:128 offset1:224
	ds_read2st64_b32 v[117:118], v25 offset1:9
	v_mad_i32_i24 v85, 0xffffffdc, v52, v33
	ds_read_b32 v127, v85
	s_waitcnt lgkmcnt(6)
	v_lshrrev_b32_e32 v129, 16, v114
	v_lshrrev_b32_e32 v120, 16, v99
	;; [unrolled: 1-line block ×3, first 2 shown]
	s_waitcnt lgkmcnt(1)
	v_lshrrev_b32_e32 v136, 16, v118
	s_waitcnt vmcnt(9)
	v_mul_f16_sdwa v126, v0, v120 dst_sel:DWORD dst_unused:UNUSED_PAD src0_sel:WORD_1 src1_sel:DWORD
	v_mul_f16_sdwa v128, v121, v1 dst_sel:DWORD dst_unused:UNUSED_PAD src0_sel:DWORD src1_sel:WORD_1
	v_mul_f16_sdwa v122, v119, v1 dst_sel:DWORD dst_unused:UNUSED_PAD src0_sel:DWORD src1_sel:WORD_1
	;; [unrolled: 1-line block ×4, first 2 shown]
	v_fmac_f16_e32 v126, v0, v99
	v_mul_f16_sdwa v99, v0, v99 dst_sel:DWORD dst_unused:UNUSED_PAD src0_sel:WORD_1 src1_sel:DWORD
	v_fmac_f16_e32 v128, v119, v1
	v_fma_f16 v132, v121, v1, -v122
	v_mul_f16_sdwa v121, v115, v3 dst_sel:DWORD dst_unused:UNUSED_PAD src0_sel:DWORD src1_sel:WORD_1
	v_lshrrev_b32_e32 v122, 16, v116
	v_fma_f16 v131, v0, v120, -v99
	ds_read2st64_b32 v[0:1], v101 offset0:13 offset1:16
	v_lshrrev_b32_e32 v99, 16, v115
	ds_read2_b32 v[119:120], v41 offset1:96
	v_fma_f16 v129, v129, v2, -v130
	v_fmac_f16_e32 v133, v114, v2
	v_fma_f16 v130, v99, v3, -v121
	v_mul_f16_sdwa v134, v99, v3 dst_sel:DWORD dst_unused:UNUSED_PAD src0_sel:DWORD src1_sel:WORD_1
	v_add_nc_u32_e32 v99, 0xa00, v25
	s_waitcnt vmcnt(8)
	v_mul_f16_sdwa v135, v122, v7 dst_sel:DWORD dst_unused:UNUSED_PAD src0_sel:DWORD src1_sel:WORD_1
	v_mul_f16_sdwa v114, v116, v7 dst_sel:DWORD dst_unused:UNUSED_PAD src0_sel:DWORD src1_sel:WORD_1
	;; [unrolled: 1-line block ×3, first 2 shown]
	v_fmac_f16_e32 v134, v115, v3
	ds_read2_b32 v[2:3], v99 offset0:32 offset1:128
	v_fmac_f16_e32 v135, v116, v7
	v_fma_f16 v7, v122, v7, -v114
	ds_read2_b32 v[114:115], v98 offset0:128 offset1:224
	v_fma_f16 v116, v136, v4, -v121
	ds_read2_b32 v[121:122], v79 offset0:64 offset1:160
	s_waitcnt lgkmcnt(4)
	v_lshrrev_b32_e32 v137, 16, v1
	v_mul_f16_sdwa v138, v1, v5 dst_sel:DWORD dst_unused:UNUSED_PAD src0_sel:DWORD src1_sel:WORD_1
	s_waitcnt lgkmcnt(3)
	v_lshrrev_b32_e32 v139, 16, v119
	v_mul_f16_sdwa v140, v119, v6 dst_sel:DWORD dst_unused:UNUSED_PAD src0_sel:DWORD src1_sel:WORD_1
	v_mul_f16_sdwa v136, v136, v4 dst_sel:DWORD dst_unused:UNUSED_PAD src0_sel:DWORD src1_sel:WORD_1
	v_lshrrev_b32_e32 v141, 16, v120
	v_fma_f16 v138, v137, v5, -v138
	v_mul_f16_sdwa v137, v137, v5 dst_sel:DWORD dst_unused:UNUSED_PAD src0_sel:DWORD src1_sel:WORD_1
	v_fma_f16 v140, v139, v6, -v140
	v_mul_f16_sdwa v139, v139, v6 dst_sel:DWORD dst_unused:UNUSED_PAD src0_sel:DWORD src1_sel:WORD_1
	v_fmac_f16_e32 v136, v118, v4
	s_waitcnt vmcnt(7)
	v_mul_f16_sdwa v118, v141, v10 dst_sel:DWORD dst_unused:UNUSED_PAD src0_sel:DWORD src1_sel:WORD_1
	v_fmac_f16_e32 v137, v1, v5
	v_mul_f16_sdwa v1, v120, v10 dst_sel:DWORD dst_unused:UNUSED_PAD src0_sel:DWORD src1_sel:WORD_1
	v_fmac_f16_e32 v139, v119, v6
	s_waitcnt lgkmcnt(2)
	v_lshrrev_b32_e32 v4, 16, v2
	v_mul_f16_sdwa v5, v2, v8 dst_sel:DWORD dst_unused:UNUSED_PAD src0_sel:DWORD src1_sel:WORD_1
	v_fmac_f16_e32 v118, v120, v10
	v_fma_f16 v6, v141, v10, -v1
	s_waitcnt lgkmcnt(1)
	v_lshrrev_b32_e32 v1, 16, v114
	v_mul_f16_sdwa v10, v114, v9 dst_sel:DWORD dst_unused:UNUSED_PAD src0_sel:DWORD src1_sel:WORD_1
	v_fma_f16 v119, v4, v8, -v5
	s_waitcnt lgkmcnt(0)
	v_lshrrev_b32_e32 v120, 16, v121
	v_mul_f16_sdwa v141, v4, v8 dst_sel:DWORD dst_unused:UNUSED_PAD src0_sel:DWORD src1_sel:WORD_1
	v_mul_f16_sdwa v142, v121, v11 dst_sel:DWORD dst_unused:UNUSED_PAD src0_sel:DWORD src1_sel:WORD_1
	v_fma_f16 v10, v1, v9, -v10
	ds_read2_b32 v[4:5], v89 offset0:64 offset1:160
	v_mul_f16_sdwa v143, v1, v9 dst_sel:DWORD dst_unused:UNUSED_PAD src0_sel:DWORD src1_sel:WORD_1
	v_lshrrev_b32_e32 v1, 16, v3
	v_mul_f16_sdwa v144, v120, v11 dst_sel:DWORD dst_unused:UNUSED_PAD src0_sel:DWORD src1_sel:WORD_1
	v_fma_f16 v120, v120, v11, -v142
	v_lshrrev_b32_e32 v142, 16, v115
	v_fmac_f16_e32 v141, v2, v8
	s_waitcnt vmcnt(6)
	v_mul_f16_sdwa v145, v1, v12 dst_sel:DWORD dst_unused:UNUSED_PAD src0_sel:DWORD src1_sel:WORD_1
	v_mul_f16_sdwa v2, v3, v12 dst_sel:DWORD dst_unused:UNUSED_PAD src0_sel:DWORD src1_sel:WORD_1
	v_lshrrev_b32_e32 v8, 16, v122
	v_fmac_f16_e32 v143, v114, v9
	v_mul_f16_sdwa v9, v142, v13 dst_sel:DWORD dst_unused:UNUSED_PAD src0_sel:DWORD src1_sel:WORD_1
	v_fmac_f16_e32 v145, v3, v12
	v_mul_f16_sdwa v3, v115, v13 dst_sel:DWORD dst_unused:UNUSED_PAD src0_sel:DWORD src1_sel:WORD_1
	v_fma_f16 v12, v1, v12, -v2
	ds_read2_b32 v[1:2], v27 offset1:96
	v_fmac_f16_e32 v144, v121, v11
	v_mul_f16_sdwa v11, v8, v15 dst_sel:DWORD dst_unused:UNUSED_PAD src0_sel:DWORD src1_sel:WORD_1
	v_fmac_f16_e32 v9, v115, v13
	v_mul_f16_sdwa v114, v122, v15 dst_sel:DWORD dst_unused:UNUSED_PAD src0_sel:DWORD src1_sel:WORD_1
	v_fma_f16 v13, v142, v13, -v3
	v_lshrrev_b32_e32 v3, 16, v0
	v_fmac_f16_e32 v11, v122, v15
	s_waitcnt lgkmcnt(1)
	v_lshrrev_b32_e32 v115, 16, v4
	v_fma_f16 v8, v8, v15, -v114
	v_mul_f16_sdwa v15, v4, v14 dst_sel:DWORD dst_unused:UNUSED_PAD src0_sel:DWORD src1_sel:WORD_1
	v_lshrrev_b32_e32 v114, 16, v113
	s_waitcnt vmcnt(5)
	v_mul_f16_sdwa v142, v3, v16 dst_sel:DWORD dst_unused:UNUSED_PAD src0_sel:DWORD src1_sel:WORD_1
	v_mul_f16_sdwa v121, v115, v14 dst_sel:DWORD dst_unused:UNUSED_PAD src0_sel:DWORD src1_sel:WORD_1
	v_lshrrev_b32_e32 v122, 16, v5
	v_fma_f16 v15, v115, v14, -v15
	v_mul_f16_sdwa v115, v114, v17 dst_sel:DWORD dst_unused:UNUSED_PAD src0_sel:DWORD src1_sel:WORD_1
	v_fmac_f16_e32 v142, v0, v16
	v_mul_f16_sdwa v0, v0, v16 dst_sel:DWORD dst_unused:UNUSED_PAD src0_sel:DWORD src1_sel:WORD_1
	v_fmac_f16_e32 v121, v4, v14
	;; [unrolled: 2-line block ×3, first 2 shown]
	s_waitcnt vmcnt(4) lgkmcnt(0)
	v_mul_f16_sdwa v113, v2, v100 dst_sel:DWORD dst_unused:UNUSED_PAD src0_sel:DWORD src1_sel:WORD_1
	v_fma_f16 v16, v3, v16, -v0
	v_lshrrev_b32_e32 v0, 16, v2
	v_lshrrev_b32_e32 v3, 16, v1
	v_mul_f16_sdwa v4, v122, v18 dst_sel:DWORD dst_unused:UNUSED_PAD src0_sel:DWORD src1_sel:WORD_1
	v_fma_f16 v14, v114, v17, -v14
	v_mul_f16_sdwa v17, v1, v19 dst_sel:DWORD dst_unused:UNUSED_PAD src0_sel:DWORD src1_sel:WORD_1
	v_mul_f16_sdwa v114, v0, v100 dst_sel:DWORD dst_unused:UNUSED_PAD src0_sel:DWORD src1_sel:WORD_1
	;; [unrolled: 1-line block ×3, first 2 shown]
	v_fma_f16 v0, v0, v100, -v113
	v_fmac_f16_e32 v4, v5, v18
	v_mul_f16_sdwa v5, v5, v18 dst_sel:DWORD dst_unused:UNUSED_PAD src0_sel:DWORD src1_sel:WORD_1
	v_fmac_f16_e32 v114, v2, v100
	v_fmac_f16_e32 v146, v1, v19
	v_add_f16_e32 v1, v129, v0
	v_fma_f16 v17, v3, v19, -v17
	v_fma_f16 v5, v122, v18, -v5
	v_lshrrev_b32_e32 v18, 16, v117
	v_add_f16_e32 v3, v133, v114
	v_add_f16_e32 v19, v131, v129
	v_fmac_f16_e32 v131, -0.5, v1
	v_sub_f16_e32 v1, v133, v114
	v_add_f16_e32 v2, v128, v134
	v_add_f16_e32 v100, v117, v128
	;; [unrolled: 1-line block ×3, first 2 shown]
	v_fmac_f16_e32 v126, -0.5, v3
	v_sub_f16_e32 v3, v129, v0
	v_fmamk_f16 v122, v1, 0x3aee, v131
	v_fmac_f16_e32 v131, 0xbaee, v1
	v_sub_f16_e32 v1, v132, v130
	v_add_f16_e32 v129, v18, v132
	v_add_f16_e32 v132, v132, v130
	v_fmac_f16_e32 v117, -0.5, v2
	v_fmamk_f16 v2, v3, 0xbaee, v126
	v_sub_f16_e32 v128, v128, v134
	v_add_f16_e32 v129, v129, v130
	v_fmac_f16_e32 v18, -0.5, v132
	v_add_f16_e32 v130, v100, v134
	v_mul_f16_e32 v134, 0xbaee, v122
	v_mul_f16_e32 v122, 0.5, v122
	v_fmamk_f16 v133, v1, 0xbaee, v117
	v_fmac_f16_e32 v117, 0x3aee, v1
	v_mov_b32_e32 v132, 0xf0
	v_mov_b32_e32 v100, 2
	v_add_f16_e32 v113, v113, v114
	v_add_f16_e32 v19, v19, v0
	v_fmac_f16_e32 v134, 0.5, v2
	v_fmac_f16_e32 v122, 0x3aee, v2
	v_fmamk_f16 v114, v128, 0x3aee, v18
	ds_read2_b32 v[0:1], v35 offset0:64 offset1:160
	v_fmac_f16_e32 v126, 0x3aee, v3
	v_mul_f16_e32 v3, 0xbaee, v131
	v_mul_u32_u24_sdwa v107, v107, v132 dst_sel:DWORD dst_unused:UNUSED_PAD src0_sel:WORD_0 src1_sel:DWORD
	v_lshlrev_b32_sdwa v2, v100, v108 dst_sel:DWORD dst_unused:UNUSED_PAD src0_sel:DWORD src1_sel:BYTE_0
	v_add_f16_e32 v108, v130, v113
	v_add_f16_e32 v147, v129, v19
	v_add_f16_e32 v148, v133, v134
	v_add_f16_e32 v149, v114, v122
	v_fmac_f16_e32 v3, -0.5, v126
	v_add3_u32 v107, 0, v107, v2
	v_pack_b32_f16 v108, v108, v147
	v_mul_f16_e32 v131, -0.5, v131
	v_pack_b32_f16 v147, v148, v149
	v_add_f16_e32 v150, v117, v3
	v_sub_f16_e32 v117, v117, v3
	ds_read2_b32 v[2:3], v37 offset0:128 offset1:224
	s_waitcnt vmcnt(0) lgkmcnt(0)
	s_barrier
	buffer_gl0_inv
	ds_write2_b32 v107, v108, v147 offset1:10
	v_sub_f16_e32 v108, v130, v113
	v_sub_f16_e32 v19, v129, v19
	v_fmac_f16_e32 v18, 0xbaee, v128
	v_fmac_f16_e32 v131, 0x3aee, v126
	v_sub_f16_e32 v126, v133, v134
	v_sub_f16_e32 v114, v114, v122
	v_lshrrev_b32_e32 v122, 16, v0
	v_pack_b32_f16 v19, v108, v19
	v_mul_f16_sdwa v108, v0, v110 dst_sel:DWORD dst_unused:UNUSED_PAD src0_sel:DWORD src1_sel:WORD_1
	v_add_f16_e32 v113, v18, v131
	v_sub_f16_e32 v18, v18, v131
	v_pack_b32_f16 v114, v126, v114
	v_mul_f16_sdwa v126, v122, v110 dst_sel:DWORD dst_unused:UNUSED_PAD src0_sel:DWORD src1_sel:WORD_1
	v_fma_f16 v108, v122, v110, -v108
	v_lshrrev_b32_e32 v122, 16, v124
	v_pack_b32_f16 v18, v117, v18
	v_add_f16_e32 v117, v137, v135
	v_fmac_f16_e32 v126, v0, v110
	v_add_f16_e32 v110, v140, v108
	v_add_f16_e32 v0, v124, v137
	;; [unrolled: 1-line block ×3, first 2 shown]
	v_fmac_f16_e32 v124, -0.5, v117
	v_add_f16_e32 v117, v122, v138
	v_add_f16_e32 v130, v116, v140
	v_fmac_f16_e32 v116, -0.5, v110
	v_sub_f16_e32 v110, v139, v126
	v_add_f16_e32 v131, v139, v126
	v_sub_f16_e32 v129, v138, v7
	v_add_f16_e32 v7, v117, v7
	v_fmac_f16_e32 v122, -0.5, v128
	v_add_f16_e32 v117, v136, v139
	v_fmamk_f16 v128, v110, 0x3aee, v116
	v_fmac_f16_e32 v136, -0.5, v131
	v_sub_f16_e32 v131, v140, v108
	v_fmac_f16_e32 v116, 0xbaee, v110
	v_add_f16_e32 v0, v0, v135
	v_sub_f16_e32 v133, v137, v135
	v_mul_f16_e32 v134, 0xbaee, v128
	v_mul_f16_e32 v128, 0.5, v128
	v_fmamk_f16 v135, v131, 0xbaee, v136
	v_add_f16_e32 v108, v130, v108
	v_fmac_f16_e32 v136, 0x3aee, v131
	v_mul_f16_e32 v130, 0xbaee, v116
	v_mul_f16_e32 v116, -0.5, v116
	v_mul_u32_u24_sdwa v105, v105, v132 dst_sel:DWORD dst_unused:UNUSED_PAD src0_sel:WORD_0 src1_sel:DWORD
	v_lshlrev_b32_sdwa v106, v100, v106 dst_sel:DWORD dst_unused:UNUSED_PAD src0_sel:DWORD src1_sel:BYTE_0
	v_add_f16_e32 v117, v117, v126
	v_fmac_f16_e32 v134, 0.5, v135
	v_fmac_f16_e32 v128, 0x3aee, v135
	v_fmamk_f16 v110, v129, 0xbaee, v124
	v_fmac_f16_e32 v124, 0x3aee, v129
	v_fmamk_f16 v129, v133, 0x3aee, v122
	v_pack_b32_f16 v113, v150, v113
	v_fmac_f16_e32 v122, 0xbaee, v133
	v_fmac_f16_e32 v130, -0.5, v136
	v_fmac_f16_e32 v116, 0x3aee, v136
	v_add3_u32 v105, 0, v105, v106
	v_add_f16_e32 v106, v0, v117
	v_add_f16_e32 v126, v7, v108
	;; [unrolled: 1-line block ×4, first 2 shown]
	ds_write2_b32 v107, v113, v19 offset0:20 offset1:30
	v_add_f16_e32 v19, v124, v130
	v_add_f16_e32 v113, v122, v116
	v_sub_f16_e32 v0, v0, v117
	v_sub_f16_e32 v7, v7, v108
	v_pack_b32_f16 v106, v106, v126
	v_pack_b32_f16 v126, v131, v132
	ds_write2_b32 v107, v114, v18 offset0:40 offset1:50
	ds_write2_b32 v105, v106, v126 offset1:10
	v_pack_b32_f16 v18, v19, v113
	v_sub_f16_e32 v19, v110, v134
	v_sub_f16_e32 v107, v129, v128
	v_lshrrev_b32_e32 v108, 16, v1
	v_pack_b32_f16 v0, v0, v7
	v_mul_f16_sdwa v7, v1, v109 dst_sel:DWORD dst_unused:UNUSED_PAD src0_sel:DWORD src1_sel:WORD_1
	v_sub_f16_e32 v106, v124, v130
	v_pack_b32_f16 v19, v19, v107
	v_mul_f16_sdwa v107, v108, v109 dst_sel:DWORD dst_unused:UNUSED_PAD src0_sel:DWORD src1_sel:WORD_1
	v_sub_f16_e32 v110, v122, v116
	v_fma_f16 v7, v108, v109, -v7
	v_lshrrev_b32_e32 v108, 16, v127
	v_add_f16_e32 v113, v10, v120
	v_fmac_f16_e32 v107, v1, v109
	v_pack_b32_f16 v106, v106, v110
	v_add_f16_e32 v109, v6, v7
	v_add_f16_e32 v110, v143, v144
	;; [unrolled: 1-line block ×5, first 2 shown]
	v_fmac_f16_e32 v119, -0.5, v109
	v_sub_f16_e32 v109, v118, v107
	v_fmac_f16_e32 v127, -0.5, v110
	v_add_f16_e32 v110, v108, v10
	v_fmac_f16_e32 v108, -0.5, v113
	v_add_f16_e32 v113, v141, v118
	v_fmamk_f16 v117, v109, 0x3aee, v119
	v_fmac_f16_e32 v141, -0.5, v116
	v_sub_f16_e32 v6, v6, v7
	v_fmac_f16_e32 v119, 0xbaee, v109
	v_sub_f16_e32 v10, v10, v120
	v_add_f16_e32 v110, v110, v120
	v_sub_f16_e32 v116, v143, v144
	v_mul_f16_e32 v118, 0xbaee, v117
	v_mul_f16_e32 v117, 0.5, v117
	v_fmamk_f16 v120, v6, 0xbaee, v141
	v_lshlrev_b32_sdwa v104, v100, v104 dst_sel:DWORD dst_unused:UNUSED_PAD src0_sel:DWORD src1_sel:WORD_0
	v_fmac_f16_e32 v141, 0x3aee, v6
	v_mul_f16_e32 v6, 0xbaee, v119
	v_mul_f16_e32 v119, -0.5, v119
	v_add_f16_e32 v1, v1, v144
	v_add_f16_e32 v107, v113, v107
	;; [unrolled: 1-line block ×3, first 2 shown]
	v_fmac_f16_e32 v118, 0.5, v120
	v_fmac_f16_e32 v117, 0x3aee, v120
	v_add3_u32 v103, 0, v103, v104
	v_fmamk_f16 v104, v10, 0xbaee, v127
	v_fmamk_f16 v114, v116, 0x3aee, v108
	v_fmac_f16_e32 v127, 0x3aee, v10
	v_fmac_f16_e32 v108, 0xbaee, v116
	v_fmac_f16_e32 v6, -0.5, v141
	v_fmac_f16_e32 v119, 0x3aee, v141
	v_add_f16_e32 v113, v1, v107
	v_add_f16_e32 v109, v110, v7
	;; [unrolled: 1-line block ×4, first 2 shown]
	ds_write2_b32 v105, v18, v0 offset0:20 offset1:30
	v_add_f16_e32 v0, v127, v6
	v_add_f16_e32 v18, v108, v119
	v_sub_f16_e32 v1, v1, v107
	v_sub_f16_e32 v7, v110, v7
	v_pack_b32_f16 v10, v113, v109
	v_pack_b32_f16 v109, v120, v122
	ds_write2_b32 v105, v19, v106 offset0:40 offset1:50
	ds_write2_b32 v103, v10, v109 offset1:10
	v_pack_b32_f16 v0, v0, v18
	v_sub_f16_e32 v10, v104, v118
	v_sub_f16_e32 v6, v127, v6
	;; [unrolled: 1-line block ×3, first 2 shown]
	v_lshrrev_b32_e32 v19, 16, v2
	v_sub_f16_e32 v104, v108, v119
	v_pack_b32_f16 v1, v1, v7
	v_mul_f16_sdwa v7, v2, v125 dst_sel:DWORD dst_unused:UNUSED_PAD src0_sel:DWORD src1_sel:WORD_1
	v_pack_b32_f16 v10, v10, v18
	v_mul_f16_sdwa v18, v19, v125 dst_sel:DWORD dst_unused:UNUSED_PAD src0_sel:DWORD src1_sel:WORD_1
	v_pack_b32_f16 v6, v6, v104
	v_add_f16_e32 v104, v9, v11
	v_fma_f16 v7, v19, v125, -v7
	v_lshrrev_b32_e32 v19, 16, v123
	v_fmac_f16_e32 v18, v2, v125
	v_add_f16_e32 v2, v123, v9
	v_fmac_f16_e32 v123, -0.5, v104
	v_add_f16_e32 v104, v15, v7
	v_add_f16_e32 v105, v19, v13
	;; [unrolled: 1-line block ×5, first 2 shown]
	v_fmac_f16_e32 v12, -0.5, v104
	v_sub_f16_e32 v104, v121, v18
	v_sub_f16_e32 v13, v13, v8
	v_add_f16_e32 v8, v105, v8
	v_fmac_f16_e32 v19, -0.5, v106
	v_add_f16_e32 v105, v145, v121
	v_fmamk_f16 v106, v104, 0x3aee, v12
	v_fmac_f16_e32 v145, -0.5, v108
	v_sub_f16_e32 v15, v15, v7
	v_fmac_f16_e32 v12, 0xbaee, v104
	v_add_f16_e32 v2, v2, v11
	v_sub_f16_e32 v9, v9, v11
	v_mul_f16_e32 v11, 0xbaee, v106
	v_mul_f16_e32 v106, 0.5, v106
	v_fmamk_f16 v108, v15, 0xbaee, v145
	v_lshlrev_b32_sdwa v102, v100, v102 dst_sel:DWORD dst_unused:UNUSED_PAD src0_sel:DWORD src1_sel:WORD_0
	v_add_f16_e32 v18, v105, v18
	v_add_f16_e32 v7, v107, v7
	v_fmac_f16_e32 v145, 0x3aee, v15
	v_mul_f16_e32 v15, 0xbaee, v12
	v_mul_f16_e32 v12, -0.5, v12
	v_fmac_f16_e32 v11, 0.5, v108
	v_fmac_f16_e32 v106, 0x3aee, v108
	v_add3_u32 v96, 0, v96, v102
	v_fmamk_f16 v102, v13, 0xbaee, v123
	v_fmamk_f16 v107, v9, 0x3aee, v19
	v_add_f16_e32 v105, v2, v18
	v_add_f16_e32 v104, v8, v7
	v_fmac_f16_e32 v123, 0x3aee, v13
	v_fmac_f16_e32 v19, 0xbaee, v9
	v_fmac_f16_e32 v15, -0.5, v145
	v_fmac_f16_e32 v12, 0x3aee, v145
	v_add_f16_e32 v108, v102, v11
	v_add_f16_e32 v109, v107, v106
	v_pack_b32_f16 v9, v105, v104
	v_sub_f16_e32 v2, v2, v18
	v_add_f16_e32 v18, v123, v15
	v_add_f16_e32 v104, v19, v12
	v_sub_f16_e32 v7, v8, v7
	v_pack_b32_f16 v13, v108, v109
	ds_write2_b32 v103, v0, v1 offset0:20 offset1:30
	ds_write2_b32 v103, v10, v6 offset0:40 offset1:50
	ds_write2_b32 v96, v9, v13 offset1:10
	v_pack_b32_f16 v0, v18, v104
	v_pack_b32_f16 v1, v2, v7
	v_sub_f16_e32 v2, v102, v11
	v_sub_f16_e32 v7, v107, v106
	v_lshrrev_b32_e32 v8, 16, v3
	v_sub_f16_e32 v6, v123, v15
	ds_write2_b32 v96, v0, v1 offset0:20 offset1:30
	v_mul_f16_sdwa v0, v3, v112 dst_sel:DWORD dst_unused:UNUSED_PAD src0_sel:DWORD src1_sel:WORD_1
	v_pack_b32_f16 v1, v2, v7
	v_mul_f16_sdwa v2, v8, v112 dst_sel:DWORD dst_unused:UNUSED_PAD src0_sel:DWORD src1_sel:WORD_1
	v_add_f16_e32 v7, v115, v146
	v_sub_f16_e32 v9, v19, v12
	v_fma_f16 v0, v8, v112, -v0
	v_lshrrev_b32_e32 v8, 16, v111
	v_fmac_f16_e32 v2, v3, v112
	v_add_f16_e32 v3, v111, v115
	v_fmac_f16_e32 v111, -0.5, v7
	v_add_f16_e32 v7, v5, v0
	v_add_f16_e32 v10, v14, v17
	;; [unrolled: 1-line block ×4, first 2 shown]
	v_pack_b32_f16 v6, v6, v9
	v_fmac_f16_e32 v16, -0.5, v7
	v_sub_f16_e32 v7, v4, v2
	v_add_f16_e32 v9, v8, v14
	v_fmac_f16_e32 v8, -0.5, v10
	v_add_f16_e32 v4, v142, v4
	v_fmac_f16_e32 v142, -0.5, v13
	v_fmamk_f16 v10, v7, 0x3aee, v16
	v_sub_f16_e32 v5, v5, v0
	v_fmac_f16_e32 v16, 0xbaee, v7
	v_sub_f16_e32 v11, v14, v17
	v_add_f16_e32 v9, v9, v17
	v_sub_f16_e32 v13, v115, v146
	v_mul_f16_e32 v14, 0xbaee, v10
	v_mul_f16_e32 v10, 0.5, v10
	v_fmamk_f16 v15, v5, 0xbaee, v142
	v_mul_u32_u24_e32 v17, 0xf0, v91
	v_lshlrev_b32_sdwa v18, v100, v92 dst_sel:DWORD dst_unused:UNUSED_PAD src0_sel:DWORD src1_sel:WORD_0
	v_add_f16_e32 v3, v3, v146
	v_add_f16_e32 v2, v4, v2
	v_add_f16_e32 v0, v12, v0
	v_fmac_f16_e32 v142, 0x3aee, v5
	v_mul_f16_e32 v5, 0xbaee, v16
	v_mul_f16_e32 v16, -0.5, v16
	v_fmac_f16_e32 v14, 0.5, v15
	v_fmac_f16_e32 v10, 0x3aee, v15
	v_add3_u32 v4, 0, v17, v18
	v_fmamk_f16 v15, v11, 0xbaee, v111
	v_fmamk_f16 v17, v13, 0x3aee, v8
	v_add_f16_e32 v7, v3, v2
	v_add_f16_e32 v12, v9, v0
	v_fmac_f16_e32 v111, 0x3aee, v11
	v_fmac_f16_e32 v8, 0xbaee, v13
	v_fmac_f16_e32 v5, -0.5, v142
	v_fmac_f16_e32 v16, 0x3aee, v142
	v_subrev_nc_u32_e32 v19, 60, v22
	v_add_f16_e32 v11, v15, v14
	v_add_f16_e32 v13, v17, v10
	v_pack_b32_f16 v7, v7, v12
	v_add_f16_e32 v12, v111, v5
	v_add_f16_e32 v18, v8, v16
	v_sub_f16_e32 v2, v3, v2
	v_sub_f16_e32 v0, v9, v0
	v_cndmask_b32_e64 v108, v19, v22, s0
	v_sub_f16_e32 v9, v15, v14
	v_sub_f16_e32 v5, v111, v5
	;; [unrolled: 1-line block ×4, first 2 shown]
	v_pack_b32_f16 v11, v11, v13
	v_pack_b32_f16 v3, v12, v18
	;; [unrolled: 1-line block ×3, first 2 shown]
	v_mul_i32_i24_e32 v91, 5, v108
	v_mov_b32_e32 v92, 0
	v_pack_b32_f16 v9, v9, v10
	v_pack_b32_f16 v5, v5, v8
	ds_write2_b32 v96, v1, v6 offset0:40 offset1:50
	ds_write2_b32 v4, v7, v11 offset1:10
	ds_write2_b32 v4, v3, v2 offset0:20 offset1:30
	ds_write2_b32 v4, v9, v5 offset0:40 offset1:50
	v_mul_lo_u16 v2, 0x89, v95
	v_lshlrev_b64 v[0:1], 2, v[91:92]
	s_waitcnt lgkmcnt(0)
	s_barrier
	buffer_gl0_inv
	v_lshrrev_b16 v107, 13, v2
	v_mov_b32_e32 v12, 0x8889
	v_add_co_u32 v95, s0, s8, v0
	v_add_co_ci_u32_e64 v96, s0, s9, v1, s0
	v_mul_lo_u16 v4, v107, 60
	v_mul_u32_u24_sdwa v5, v52, v12 dst_sel:DWORD dst_unused:UNUSED_PAD src0_sel:WORD_0 src1_sel:DWORD
	v_mul_u32_u24_sdwa v9, v74, v12 dst_sel:DWORD dst_unused:UNUSED_PAD src0_sel:WORD_0 src1_sel:DWORD
	global_load_dwordx4 v[0:3], v[95:96], off offset:200
	v_mul_u32_u24_sdwa v12, v72, v12 dst_sel:DWORD dst_unused:UNUSED_PAD src0_sel:WORD_0 src1_sel:DWORD
	v_sub_nc_u16 v109, v50, v4
	v_lshrrev_b32_e32 v105, 21, v5
	v_lshrrev_b32_e32 v103, 21, v9
	v_cmp_lt_u32_e64 s0, 59, v22
	v_lshrrev_b32_e32 v91, 21, v12
	v_mul_u32_u24_sdwa v4, v109, v94 dst_sel:DWORD dst_unused:UNUSED_PAD src0_sel:BYTE_0 src1_sel:DWORD
	v_mul_lo_u16 v8, v105, 60
	v_mul_lo_u16 v13, v103, 60
	;; [unrolled: 1-line block ×3, first 2 shown]
	v_lshlrev_b32_e32 v110, 2, v4
	v_sub_nc_u16 v106, v52, v8
	v_sub_nc_u16 v104, v74, v13
	;; [unrolled: 1-line block ×3, first 2 shown]
	global_load_dwordx4 v[4:7], v110, s[8:9] offset:200
	v_mul_u32_u24_sdwa v8, v106, v94 dst_sel:DWORD dst_unused:UNUSED_PAD src0_sel:WORD_0 src1_sel:DWORD
	v_mul_u32_u24_sdwa v13, v104, v94 dst_sel:DWORD dst_unused:UNUSED_PAD src0_sel:WORD_0 src1_sel:DWORD
	;; [unrolled: 1-line block ×3, first 2 shown]
	v_lshlrev_b32_e32 v114, 2, v8
	v_lshlrev_b32_e32 v115, 2, v13
	;; [unrolled: 1-line block ×3, first 2 shown]
	s_clause 0x5
	global_load_dwordx4 v[8:11], v114, s[8:9] offset:200
	global_load_dwordx4 v[16:19], v115, s[8:9] offset:200
	;; [unrolled: 1-line block ×3, first 2 shown]
	global_load_dword v112, v[95:96], off offset:216
	global_load_dword v111, v110, s[8:9] offset:216
	global_load_dword v110, v114, s[8:9] offset:216
	ds_read_b32 v117, v43
	ds_read_b32 v116, v39
	ds_read2_b32 v[93:94], v93 offset0:64 offset1:160
	ds_read2_b32 v[95:96], v29 offset0:128 offset1:224
	ds_read_b32 v122, v83
	ds_read_b32 v114, v81
	;; [unrolled: 1-line block ×3, first 2 shown]
	global_load_dword v124, v115, s[8:9] offset:216
	ds_read2st64_b32 v[118:119], v25 offset1:9
	ds_read_b32 v128, v85
	s_waitcnt lgkmcnt(8)
	v_lshrrev_b32_e32 v120, 16, v117
	s_waitcnt lgkmcnt(7)
	v_lshrrev_b32_e32 v125, 16, v116
	;; [unrolled: 2-line block ×5, first 2 shown]
	s_waitcnt vmcnt(8)
	v_mul_f16_sdwa v126, v0, v120 dst_sel:DWORD dst_unused:UNUSED_PAD src0_sel:WORD_1 src1_sel:DWORD
	v_mul_f16_sdwa v115, v0, v117 dst_sel:DWORD dst_unused:UNUSED_PAD src0_sel:WORD_1 src1_sel:DWORD
	;; [unrolled: 1-line block ×3, first 2 shown]
	v_mul_f16_sdwa v131, v95, v3 dst_sel:DWORD dst_unused:UNUSED_PAD src0_sel:DWORD src1_sel:WORD_1
	v_fmac_f16_e32 v126, v0, v117
	v_fma_f16 v117, v0, v120, -v115
	v_mul_f16_sdwa v0, v1, v116 dst_sel:DWORD dst_unused:UNUSED_PAD src0_sel:WORD_1 src1_sel:DWORD
	v_fmac_f16_e32 v127, v1, v116
	ds_read2st64_b32 v[115:116], v101 offset0:13 offset1:16
	ds_read2_b32 v[120:121], v41 offset1:96
	v_mul_f16_sdwa v101, v2, v94 dst_sel:DWORD dst_unused:UNUSED_PAD src0_sel:WORD_1 src1_sel:DWORD
	v_fma_f16 v125, v1, v125, -v0
	v_lshrrev_b32_e32 v0, 16, v96
	v_fma_f16 v131, v130, v3, -v131
	v_mul_f16_sdwa v130, v130, v3 dst_sel:DWORD dst_unused:UNUSED_PAD src0_sel:DWORD src1_sel:WORD_1
	v_fma_f16 v101, v2, v129, -v101
	s_waitcnt vmcnt(7)
	v_mul_f16_sdwa v1, v96, v7 dst_sel:DWORD dst_unused:UNUSED_PAD src0_sel:DWORD src1_sel:WORD_1
	v_mul_f16_sdwa v132, v0, v7 dst_sel:DWORD dst_unused:UNUSED_PAD src0_sel:DWORD src1_sel:WORD_1
	v_mul_f16_sdwa v129, v2, v129 dst_sel:DWORD dst_unused:UNUSED_PAD src0_sel:WORD_1 src1_sel:DWORD
	v_mul_f16_sdwa v134, v119, v4 dst_sel:DWORD dst_unused:UNUSED_PAD src0_sel:DWORD src1_sel:WORD_1
	v_fmac_f16_e32 v130, v95, v3
	v_fmac_f16_e32 v132, v96, v7
	v_fma_f16 v7, v0, v7, -v1
	ds_read2_b32 v[0:1], v99 offset0:32 offset1:128
	v_fmac_f16_e32 v129, v2, v94
	v_fma_f16 v96, v133, v4, -v134
	ds_read2_b32 v[2:3], v98 offset0:128 offset1:224
	s_waitcnt lgkmcnt(3)
	v_lshrrev_b32_e32 v134, 16, v116
	v_mul_f16_sdwa v98, v116, v5 dst_sel:DWORD dst_unused:UNUSED_PAD src0_sel:DWORD src1_sel:WORD_1
	s_waitcnt lgkmcnt(2)
	v_lshrrev_b32_e32 v135, 16, v120
	v_mul_f16_sdwa v136, v120, v6 dst_sel:DWORD dst_unused:UNUSED_PAD src0_sel:DWORD src1_sel:WORD_1
	v_mul_f16_sdwa v133, v133, v4 dst_sel:DWORD dst_unused:UNUSED_PAD src0_sel:DWORD src1_sel:WORD_1
	v_lshrrev_b32_e32 v137, 16, v121
	v_fma_f16 v98, v134, v5, -v98
	v_mul_f16_sdwa v134, v134, v5 dst_sel:DWORD dst_unused:UNUSED_PAD src0_sel:DWORD src1_sel:WORD_1
	v_fma_f16 v136, v135, v6, -v136
	v_mul_f16_sdwa v135, v135, v6 dst_sel:DWORD dst_unused:UNUSED_PAD src0_sel:DWORD src1_sel:WORD_1
	s_waitcnt vmcnt(6)
	v_mul_f16_sdwa v138, v137, v10 dst_sel:DWORD dst_unused:UNUSED_PAD src0_sel:DWORD src1_sel:WORD_1
	v_mul_f16_sdwa v139, v121, v10 dst_sel:DWORD dst_unused:UNUSED_PAD src0_sel:DWORD src1_sel:WORD_1
	v_fmac_f16_e32 v133, v119, v4
	v_fmac_f16_e32 v134, v116, v5
	;; [unrolled: 1-line block ×4, first 2 shown]
	s_waitcnt lgkmcnt(1)
	v_lshrrev_b32_e32 v4, 16, v0
	v_mul_f16_sdwa v5, v0, v8 dst_sel:DWORD dst_unused:UNUSED_PAD src0_sel:DWORD src1_sel:WORD_1
	v_fma_f16 v6, v137, v10, -v139
	ds_read2_b32 v[94:95], v79 offset0:64 offset1:160
	s_waitcnt lgkmcnt(1)
	v_lshrrev_b32_e32 v10, 16, v2
	v_mul_f16_sdwa v137, v4, v8 dst_sel:DWORD dst_unused:UNUSED_PAD src0_sel:DWORD src1_sel:WORD_1
	v_fma_f16 v121, v4, v8, -v5
	ds_read2_b32 v[4:5], v89 offset0:64 offset1:160
	global_load_dword v89, v113, s[8:9] offset:216
	v_mul_f16_sdwa v116, v2, v9 dst_sel:DWORD dst_unused:UNUSED_PAD src0_sel:DWORD src1_sel:WORD_1
	v_lshrrev_b32_e32 v139, 16, v1
	v_fmac_f16_e32 v137, v0, v8
	v_fma_f16 v116, v10, v9, -v116
	v_mul_f16_sdwa v10, v10, v9 dst_sel:DWORD dst_unused:UNUSED_PAD src0_sel:DWORD src1_sel:WORD_1
	s_waitcnt vmcnt(6)
	v_mul_f16_sdwa v8, v139, v16 dst_sel:DWORD dst_unused:UNUSED_PAD src0_sel:DWORD src1_sel:WORD_1
	v_fmac_f16_e32 v10, v2, v9
	v_fmac_f16_e32 v8, v1, v16
	v_mul_f16_sdwa v2, v1, v16 dst_sel:DWORD dst_unused:UNUSED_PAD src0_sel:DWORD src1_sel:WORD_1
	s_waitcnt lgkmcnt(1)
	v_lshrrev_b32_e32 v119, 16, v94
	v_mul_f16_sdwa v120, v94, v11 dst_sel:DWORD dst_unused:UNUSED_PAD src0_sel:DWORD src1_sel:WORD_1
	v_lshrrev_b32_e32 v140, 16, v95
	ds_read2_b32 v[0:1], v27 offset1:96
	v_fma_f16 v16, v139, v16, -v2
	s_waitcnt lgkmcnt(1)
	v_lshrrev_b32_e32 v2, 16, v4
	v_fma_f16 v113, v119, v11, -v120
	v_lshrrev_b32_e32 v120, 16, v3
	v_mul_f16_sdwa v119, v119, v11 dst_sel:DWORD dst_unused:UNUSED_PAD src0_sel:DWORD src1_sel:WORD_1
	v_mul_f16_sdwa v9, v120, v17 dst_sel:DWORD dst_unused:UNUSED_PAD src0_sel:DWORD src1_sel:WORD_1
	v_fmac_f16_e32 v119, v94, v11
	v_mul_f16_sdwa v11, v140, v19 dst_sel:DWORD dst_unused:UNUSED_PAD src0_sel:DWORD src1_sel:WORD_1
	v_mul_f16_sdwa v94, v95, v19 dst_sel:DWORD dst_unused:UNUSED_PAD src0_sel:DWORD src1_sel:WORD_1
	v_fmac_f16_e32 v9, v3, v17
	v_mul_f16_sdwa v3, v3, v17 dst_sel:DWORD dst_unused:UNUSED_PAD src0_sel:DWORD src1_sel:WORD_1
	v_fmac_f16_e32 v11, v95, v19
	v_mul_f16_sdwa v95, v4, v18 dst_sel:DWORD dst_unused:UNUSED_PAD src0_sel:DWORD src1_sel:WORD_1
	v_fma_f16 v19, v140, v19, -v94
	v_lshrrev_b32_e32 v94, 16, v93
	v_fma_f16 v17, v120, v17, -v3
	v_lshrrev_b32_e32 v3, 16, v115
	v_mul_f16_sdwa v120, v2, v18 dst_sel:DWORD dst_unused:UNUSED_PAD src0_sel:DWORD src1_sel:WORD_1
	v_fma_f16 v95, v2, v18, -v95
	v_lshrrev_b32_e32 v2, 16, v5
	s_waitcnt vmcnt(4) lgkmcnt(0)
	v_mul_f16_sdwa v141, v1, v112 dst_sel:DWORD dst_unused:UNUSED_PAD src0_sel:DWORD src1_sel:WORD_1
	v_mul_f16_sdwa v139, v3, v12 dst_sel:DWORD dst_unused:UNUSED_PAD src0_sel:DWORD src1_sel:WORD_1
	v_fmac_f16_e32 v120, v4, v18
	v_mul_f16_sdwa v4, v115, v12 dst_sel:DWORD dst_unused:UNUSED_PAD src0_sel:DWORD src1_sel:WORD_1
	v_mul_f16_sdwa v18, v2, v14 dst_sel:DWORD dst_unused:UNUSED_PAD src0_sel:DWORD src1_sel:WORD_1
	;; [unrolled: 1-line block ×3, first 2 shown]
	v_fmac_f16_e32 v139, v115, v12
	v_lshrrev_b32_e32 v115, 16, v1
	v_fma_f16 v4, v3, v12, -v4
	v_fmac_f16_e32 v18, v5, v14
	v_mul_f16_sdwa v5, v5, v14 dst_sel:DWORD dst_unused:UNUSED_PAD src0_sel:DWORD src1_sel:WORD_1
	v_fmac_f16_e32 v140, v93, v13
	v_mul_f16_sdwa v142, v115, v112 dst_sel:DWORD dst_unused:UNUSED_PAD src0_sel:DWORD src1_sel:WORD_1
	v_fma_f16 v3, v115, v112, -v141
	v_mul_f16_sdwa v93, v93, v13 dst_sel:DWORD dst_unused:UNUSED_PAD src0_sel:DWORD src1_sel:WORD_1
	v_fma_f16 v5, v2, v14, -v5
	v_add_f16_e32 v115, v126, v129
	v_fmac_f16_e32 v142, v1, v112
	v_add_f16_e32 v2, v101, v3
	v_fma_f16 v12, v94, v13, -v93
	v_add_f16_e32 v94, v117, v101
	v_add_f16_e32 v13, v127, v130
	;; [unrolled: 1-line block ×3, first 2 shown]
	v_fmac_f16_e32 v117, -0.5, v2
	v_sub_f16_e32 v2, v129, v142
	v_lshrrev_b32_e32 v1, 16, v0
	v_lshrrev_b32_e32 v14, 16, v118
	v_fmac_f16_e32 v126, -0.5, v93
	v_sub_f16_e32 v93, v101, v3
	v_fmamk_f16 v101, v2, 0x3aee, v117
	v_fmac_f16_e32 v117, 0xbaee, v2
	v_add_f16_e32 v112, v118, v127
	v_fmac_f16_e32 v118, -0.5, v13
	v_sub_f16_e32 v2, v125, v131
	v_fmamk_f16 v13, v93, 0xbaee, v126
	v_fmac_f16_e32 v126, 0x3aee, v93
	v_mul_f16_e32 v93, 0xbaee, v117
	v_mul_f16_sdwa v129, v0, v15 dst_sel:DWORD dst_unused:UNUSED_PAD src0_sel:DWORD src1_sel:WORD_1
	v_mul_f16_sdwa v141, v1, v15 dst_sel:DWORD dst_unused:UNUSED_PAD src0_sel:DWORD src1_sel:WORD_1
	v_fmamk_f16 v143, v2, 0xbaee, v118
	v_fmac_f16_e32 v118, 0x3aee, v2
	v_fmac_f16_e32 v93, -0.5, v126
	v_fma_f16 v129, v1, v15, -v129
	v_add_f16_e32 v1, v14, v125
	v_add_f16_e32 v2, v125, v131
	v_fmac_f16_e32 v141, v0, v15
	v_add_f16_e32 v15, v118, v93
	v_sub_f16_e32 v93, v118, v93
	v_add_f16_e32 v118, v1, v131
	ds_read2_b32 v[0:1], v35 offset0:64 offset1:160
	v_fmac_f16_e32 v14, -0.5, v2
	v_add_f16_e32 v2, v112, v130
	v_mul_f16_e32 v112, 0xbaee, v101
	v_mul_f16_e32 v101, 0.5, v101
	v_sub_f16_e32 v125, v127, v130
	v_mul_f16_e32 v117, -0.5, v117
	v_add_f16_e32 v115, v115, v142
	v_add_f16_e32 v3, v94, v3
	v_fmac_f16_e32 v112, 0.5, v13
	v_fmac_f16_e32 v101, 0x3aee, v13
	v_lshlrev_b32_e32 v13, 2, v108
	v_fmamk_f16 v94, v125, 0x3aee, v14
	v_cndmask_b32_e64 v108, 0, 0x5a0, s0
	v_fmac_f16_e32 v14, 0xbaee, v125
	v_fmac_f16_e32 v117, 0x3aee, v126
	v_add_f16_e32 v127, v2, v115
	v_add_f16_e32 v130, v118, v3
	;; [unrolled: 1-line block ×4, first 2 shown]
	v_add3_u32 v13, 0, v108, v13
	v_sub_f16_e32 v115, v2, v115
	v_sub_f16_e32 v118, v118, v3
	;; [unrolled: 1-line block ×4, first 2 shown]
	v_add_f16_e32 v101, v14, v117
	v_sub_f16_e32 v14, v14, v117
	v_pack_b32_f16 v108, v127, v130
	v_pack_b32_f16 v127, v131, v142
	;; [unrolled: 1-line block ×6, first 2 shown]
	s_waitcnt lgkmcnt(0)
	v_lshrrev_b32_e32 v93, 16, v0
	v_add_nc_u32_e32 v112, 0x200, v13
	s_waitcnt vmcnt(3)
	v_mul_f16_sdwa v115, v0, v111 dst_sel:DWORD dst_unused:UNUSED_PAD src0_sel:DWORD src1_sel:WORD_1
	ds_read2_b32 v[2:3], v37 offset0:128 offset1:224
	s_waitcnt vmcnt(0) lgkmcnt(0)
	s_barrier
	buffer_gl0_inv
	ds_write2_b32 v13, v108, v127 offset1:60
	ds_write2_b32 v13, v15, v101 offset0:120 offset1:180
	v_mul_f16_sdwa v13, v93, v111 dst_sel:DWORD dst_unused:UNUSED_PAD src0_sel:DWORD src1_sel:WORD_1
	ds_write2_b32 v112, v94, v14 offset0:112 offset1:172
	v_fma_f16 v14, v93, v111, -v115
	v_add_f16_e32 v15, v134, v132
	v_lshrrev_b32_e32 v93, 16, v123
	v_fmac_f16_e32 v13, v0, v111
	v_add_f16_e32 v0, v123, v134
	v_add_f16_e32 v94, v136, v14
	v_fmac_f16_e32 v123, -0.5, v15
	v_add_f16_e32 v15, v93, v98
	v_add_f16_e32 v101, v98, v7
	;; [unrolled: 1-line block ×3, first 2 shown]
	v_fmac_f16_e32 v96, -0.5, v94
	v_add_f16_e32 v94, v135, v13
	v_sub_f16_e32 v111, v135, v13
	v_sub_f16_e32 v98, v98, v7
	v_add_f16_e32 v7, v15, v7
	v_add_f16_e32 v15, v133, v135
	v_fmac_f16_e32 v133, -0.5, v94
	v_fmamk_f16 v94, v111, 0x3aee, v96
	v_sub_f16_e32 v112, v136, v14
	v_add_f16_e32 v0, v0, v132
	v_mov_b32_e32 v118, 0x5a0
	v_add_f16_e32 v13, v15, v13
	v_add_f16_e32 v14, v108, v14
	v_fmac_f16_e32 v96, 0xbaee, v111
	v_fmac_f16_e32 v93, -0.5, v101
	v_sub_f16_e32 v101, v134, v132
	v_mul_f16_e32 v115, 0xbaee, v94
	v_fmamk_f16 v117, v112, 0xbaee, v133
	v_mul_f16_e32 v15, 0.5, v94
	v_mul_u32_u24_sdwa v94, v107, v118 dst_sel:DWORD dst_unused:UNUSED_PAD src0_sel:WORD_0 src1_sel:DWORD
	v_lshlrev_b32_sdwa v107, v100, v109 dst_sel:DWORD dst_unused:UNUSED_PAD src0_sel:DWORD src1_sel:BYTE_0
	v_add_f16_e32 v108, v0, v13
	v_add_f16_e32 v109, v7, v14
	v_fmac_f16_e32 v133, 0x3aee, v112
	v_mul_f16_e32 v111, 0xbaee, v96
	v_mul_f16_e32 v96, -0.5, v96
	v_fmac_f16_e32 v115, 0.5, v117
	v_fmac_f16_e32 v15, 0x3aee, v117
	v_fmamk_f16 v117, v98, 0xbaee, v123
	v_add3_u32 v94, 0, v94, v107
	v_pack_b32_f16 v107, v108, v109
	v_fmamk_f16 v108, v101, 0x3aee, v93
	v_fmac_f16_e32 v123, 0x3aee, v98
	v_fmac_f16_e32 v93, 0xbaee, v101
	v_fmac_f16_e32 v111, -0.5, v133
	v_fmac_f16_e32 v96, 0x3aee, v133
	v_sub_f16_e32 v0, v0, v13
	v_sub_f16_e32 v7, v7, v14
	v_add_f16_e32 v109, v117, v115
	v_add_f16_e32 v13, v123, v111
	;; [unrolled: 1-line block ×4, first 2 shown]
	v_pack_b32_f16 v0, v0, v7
	v_lshrrev_b32_e32 v7, 16, v1
	v_sub_f16_e32 v101, v117, v115
	v_pack_b32_f16 v13, v13, v14
	v_pack_b32_f16 v98, v109, v112
	v_sub_f16_e32 v109, v123, v111
	v_sub_f16_e32 v15, v108, v15
	;; [unrolled: 1-line block ×3, first 2 shown]
	v_mul_f16_sdwa v96, v7, v110 dst_sel:DWORD dst_unused:UNUSED_PAD src0_sel:DWORD src1_sel:WORD_1
	ds_write2_b32 v94, v13, v0 offset0:120 offset1:180
	v_mul_f16_sdwa v0, v1, v110 dst_sel:DWORD dst_unused:UNUSED_PAD src0_sel:DWORD src1_sel:WORD_1
	v_pack_b32_f16 v14, v101, v15
	v_pack_b32_f16 v15, v109, v93
	v_add_nc_u32_e32 v93, 0x200, v94
	v_fmac_f16_e32 v96, v1, v110
	v_add_f16_e32 v1, v10, v119
	v_fma_f16 v0, v7, v110, -v0
	v_lshrrev_b32_e32 v13, 16, v128
	ds_write2_b32 v93, v14, v15 offset0:112 offset1:172
	v_add_f16_e32 v7, v128, v10
	v_add_f16_e32 v15, v116, v113
	v_fmac_f16_e32 v128, -0.5, v1
	v_add_f16_e32 v1, v6, v0
	ds_write2_b32 v94, v107, v98 offset1:60
	v_add_f16_e32 v14, v13, v116
	v_fmac_f16_e32 v13, -0.5, v15
	v_add_f16_e32 v15, v121, v6
	v_fmac_f16_e32 v121, -0.5, v1
	v_sub_f16_e32 v1, v138, v96
	v_add_f16_e32 v94, v138, v96
	v_add_f16_e32 v98, v137, v138
	v_add_f16_e32 v14, v14, v113
	v_add_f16_e32 v7, v7, v119
	v_fmamk_f16 v101, v1, 0x3aee, v121
	v_fmac_f16_e32 v137, -0.5, v94
	v_sub_f16_e32 v6, v6, v0
	v_add_f16_e32 v94, v98, v96
	v_add_f16_e32 v0, v15, v0
	v_sub_f16_e32 v93, v116, v113
	v_sub_f16_e32 v10, v10, v119
	v_mul_f16_e32 v15, 0xbaee, v101
	v_mul_f16_e32 v96, 0.5, v101
	v_fmamk_f16 v98, v6, 0xbaee, v137
	v_mul_u32_u24_e32 v101, 0x5a0, v105
	v_lshlrev_b32_sdwa v105, v100, v106 dst_sel:DWORD dst_unused:UNUSED_PAD src0_sel:DWORD src1_sel:WORD_0
	v_add_f16_e32 v106, v7, v94
	v_add_f16_e32 v107, v14, v0
	v_fmac_f16_e32 v121, 0xbaee, v1
	v_fmac_f16_e32 v15, 0.5, v98
	v_fmac_f16_e32 v96, 0x3aee, v98
	v_add3_u32 v98, 0, v101, v105
	v_pack_b32_f16 v1, v106, v107
	v_fmamk_f16 v101, v93, 0xbaee, v128
	v_fmamk_f16 v105, v10, 0x3aee, v13
	v_fmac_f16_e32 v137, 0x3aee, v6
	v_mul_f16_e32 v6, 0xbaee, v121
	v_mul_f16_e32 v106, -0.5, v121
	v_add_f16_e32 v107, v101, v15
	v_fmac_f16_e32 v128, 0x3aee, v93
	v_fmac_f16_e32 v13, 0xbaee, v10
	v_fmac_f16_e32 v6, -0.5, v137
	v_fmac_f16_e32 v106, 0x3aee, v137
	v_add_f16_e32 v10, v105, v96
	v_sub_f16_e32 v7, v7, v94
	v_sub_f16_e32 v0, v14, v0
	v_add_f16_e32 v14, v128, v6
	v_add_f16_e32 v93, v13, v106
	v_sub_f16_e32 v15, v101, v15
	v_sub_f16_e32 v6, v128, v6
	;; [unrolled: 1-line block ×4, first 2 shown]
	v_pack_b32_f16 v10, v107, v10
	v_pack_b32_f16 v14, v14, v93
	;; [unrolled: 1-line block ×5, first 2 shown]
	v_lshrrev_b32_e32 v13, 16, v2
	v_add_nc_u32_e32 v15, 0x200, v98
	ds_write2_b32 v98, v1, v10 offset1:60
	v_mul_f16_sdwa v1, v2, v124 dst_sel:DWORD dst_unused:UNUSED_PAD src0_sel:DWORD src1_sel:WORD_1
	ds_write2_b32 v98, v14, v0 offset0:120 offset1:180
	v_mul_f16_sdwa v0, v13, v124 dst_sel:DWORD dst_unused:UNUSED_PAD src0_sel:DWORD src1_sel:WORD_1
	ds_write2_b32 v15, v7, v6 offset0:112 offset1:172
	v_add_f16_e32 v7, v9, v11
	v_fma_f16 v1, v13, v124, -v1
	v_lshrrev_b32_e32 v6, 16, v122
	v_fmac_f16_e32 v0, v2, v124
	v_add_f16_e32 v2, v122, v9
	v_add_f16_e32 v13, v17, v19
	v_fmac_f16_e32 v122, -0.5, v7
	v_add_f16_e32 v7, v95, v1
	v_add_f16_e32 v10, v6, v17
	v_add_f16_e32 v15, v120, v0
	v_fmac_f16_e32 v6, -0.5, v13
	v_add_f16_e32 v13, v16, v95
	v_fmac_f16_e32 v16, -0.5, v7
	v_sub_f16_e32 v7, v120, v0
	v_sub_f16_e32 v14, v17, v19
	v_add_f16_e32 v2, v2, v11
	v_add_f16_e32 v17, v8, v120
	v_sub_f16_e32 v9, v9, v11
	v_fmamk_f16 v11, v7, 0x3aee, v16
	v_fmac_f16_e32 v8, -0.5, v15
	v_sub_f16_e32 v15, v95, v1
	v_add_f16_e32 v10, v10, v19
	v_add_f16_e32 v0, v17, v0
	;; [unrolled: 1-line block ×3, first 2 shown]
	v_mul_f16_e32 v13, 0xbaee, v11
	v_mul_f16_e32 v11, 0.5, v11
	v_fmamk_f16 v17, v15, 0xbaee, v8
	v_mul_u32_u24_e32 v19, 0x5a0, v103
	v_lshlrev_b32_sdwa v93, v100, v104 dst_sel:DWORD dst_unused:UNUSED_PAD src0_sel:DWORD src1_sel:WORD_0
	v_fmac_f16_e32 v16, 0xbaee, v7
	v_add_f16_e32 v94, v2, v0
	v_add_f16_e32 v95, v10, v1
	v_fmac_f16_e32 v13, 0.5, v17
	v_fmac_f16_e32 v11, 0x3aee, v17
	v_add3_u32 v17, 0, v19, v93
	v_fmamk_f16 v19, v14, 0xbaee, v122
	v_fmamk_f16 v93, v9, 0x3aee, v6
	v_fmac_f16_e32 v8, 0x3aee, v15
	v_mul_f16_e32 v15, 0xbaee, v16
	v_mul_f16_e32 v16, -0.5, v16
	v_pack_b32_f16 v7, v94, v95
	v_add_f16_e32 v94, v19, v13
	v_fmac_f16_e32 v122, 0x3aee, v14
	v_fmac_f16_e32 v6, 0xbaee, v9
	v_fmac_f16_e32 v15, -0.5, v8
	v_fmac_f16_e32 v16, 0x3aee, v8
	v_add_f16_e32 v8, v93, v11
	v_sub_f16_e32 v0, v2, v0
	v_sub_f16_e32 v1, v10, v1
	v_add_f16_e32 v2, v122, v15
	v_add_f16_e32 v9, v6, v16
	v_sub_f16_e32 v10, v19, v13
	v_sub_f16_e32 v13, v122, v15
	;; [unrolled: 1-line block ×4, first 2 shown]
	v_pack_b32_f16 v8, v94, v8
	v_pack_b32_f16 v2, v2, v9
	;; [unrolled: 1-line block ×5, first 2 shown]
	v_lshrrev_b32_e32 v9, 16, v3
	v_add_nc_u32_e32 v10, 0x200, v17
	ds_write2_b32 v17, v7, v8 offset1:60
	v_mul_f16_sdwa v7, v3, v89 dst_sel:DWORD dst_unused:UNUSED_PAD src0_sel:DWORD src1_sel:WORD_1
	ds_write2_b32 v17, v2, v0 offset0:120 offset1:180
	v_mul_f16_sdwa v0, v9, v89 dst_sel:DWORD dst_unused:UNUSED_PAD src0_sel:DWORD src1_sel:WORD_1
	ds_write2_b32 v10, v1, v6 offset0:112 offset1:172
	v_add_f16_e32 v1, v140, v141
	v_fma_f16 v2, v9, v89, -v7
	v_lshrrev_b32_e32 v6, 16, v114
	v_fmac_f16_e32 v0, v3, v89
	v_add_f16_e32 v3, v114, v140
	v_fmac_f16_e32 v114, -0.5, v1
	v_add_f16_e32 v1, v5, v2
	v_add_f16_e32 v8, v12, v129
	;; [unrolled: 1-line block ×5, first 2 shown]
	v_fmac_f16_e32 v4, -0.5, v1
	v_sub_f16_e32 v1, v18, v0
	v_sub_f16_e32 v9, v12, v129
	v_fmac_f16_e32 v6, -0.5, v8
	v_add_f16_e32 v8, v139, v18
	v_fmac_f16_e32 v139, -0.5, v11
	v_fmamk_f16 v12, v1, 0x3aee, v4
	v_sub_f16_e32 v5, v5, v2
	v_fmac_f16_e32 v4, 0xbaee, v1
	v_sub_f16_e32 v11, v140, v141
	v_add_f16_e32 v7, v7, v129
	v_mul_f16_e32 v13, 0xbaee, v12
	v_mul_f16_e32 v12, 0.5, v12
	v_fmamk_f16 v14, v5, 0xbaee, v139
	v_fmac_f16_e32 v139, 0x3aee, v5
	v_mul_f16_e32 v5, 0xbaee, v4
	v_mul_f16_e32 v4, -0.5, v4
	v_add_f16_e32 v3, v3, v141
	v_mul_u32_u24_e32 v15, 0x5a0, v91
	v_lshlrev_b32_sdwa v16, v100, v102 dst_sel:DWORD dst_unused:UNUSED_PAD src0_sel:DWORD src1_sel:WORD_0
	v_add_f16_e32 v0, v8, v0
	v_add_f16_e32 v2, v10, v2
	v_fmac_f16_e32 v13, 0.5, v14
	v_fmac_f16_e32 v12, 0x3aee, v14
	v_fmamk_f16 v10, v9, 0xbaee, v114
	v_fmamk_f16 v14, v11, 0x3aee, v6
	v_fmac_f16_e32 v114, 0x3aee, v9
	v_fmac_f16_e32 v5, -0.5, v139
	v_fmac_f16_e32 v6, 0xbaee, v11
	v_fmac_f16_e32 v4, 0x3aee, v139
	v_add3_u32 v8, 0, v15, v16
	v_add_f16_e32 v15, v3, v0
	v_add_f16_e32 v1, v7, v2
	;; [unrolled: 1-line block ×3, first 2 shown]
	v_sub_f16_e32 v0, v3, v0
	v_sub_f16_e32 v3, v10, v13
	v_add_f16_e32 v9, v114, v5
	v_sub_f16_e32 v5, v114, v5
	v_add_f16_e32 v10, v6, v4
	v_sub_f16_e32 v2, v7, v2
	v_sub_f16_e32 v7, v14, v12
	;; [unrolled: 1-line block ×3, first 2 shown]
	v_add_f16_e32 v17, v14, v12
	v_pack_b32_f16 v6, v9, v10
	v_pack_b32_f16 v0, v0, v2
	;; [unrolled: 1-line block ×4, first 2 shown]
	v_add_nc_u32_e32 v4, 0x200, v8
	v_mov_b32_e32 v9, 0x2d83
	v_pack_b32_f16 v1, v15, v1
	v_pack_b32_f16 v15, v16, v17
	v_add_nc_u32_e32 v11, 0xffffffb8, v22
	ds_write2_b32 v4, v2, v3 offset0:112 offset1:172
	v_mul_u32_u24_sdwa v2, v45, v9 dst_sel:DWORD dst_unused:UNUSED_PAD src0_sel:WORD_0 src1_sel:DWORD
	v_mul_u32_u24_sdwa v4, v78, v9 dst_sel:DWORD dst_unused:UNUSED_PAD src0_sel:WORD_0 src1_sel:DWORD
	v_cmp_gt_u32_e64 s0, 0x48, v22
	ds_write2_b32 v8, v1, v15 offset1:60
	ds_write2_b32 v8, v6, v0 offset0:120 offset1:180
	v_lshrrev_b32_e32 v98, 22, v2
	v_lshlrev_b64 v[0:1], 2, v[22:23]
	v_lshrrev_b32_e32 v4, 22, v4
	v_lshlrev_b64 v[2:3], 2, v[50:51]
	v_cndmask_b32_e64 v91, v11, v74, s0
	v_mul_lo_u16 v5, 0x168, v98
	v_mul_u32_u24_sdwa v11, v82, v9 dst_sel:DWORD dst_unused:UNUSED_PAD src0_sel:WORD_0 src1_sel:DWORD
	v_add_co_u32 v18, s0, s8, v0
	v_mul_lo_u16 v8, 0x168, v4
	v_sub_nc_u16 v10, v45, v5
	v_lshlrev_b64 v[4:5], 2, v[52:53]
	v_add_co_ci_u32_e64 v19, s0, s9, v1, s0
	v_lshlrev_b64 v[6:7], 2, v[91:92]
	v_add_co_u32 v14, s0, s8, v2
	v_add_co_ci_u32_e64 v15, s0, s9, v3, s0
	v_add_co_u32 v16, s0, s8, v4
	v_add_co_ci_u32_e64 v17, s0, s9, v5, s0
	v_lshlrev_b32_sdwa v102, v100, v10 dst_sel:DWORD dst_unused:UNUSED_PAD src0_sel:DWORD src1_sel:WORD_0
	v_add_co_u32 v6, s0, s8, v6
	v_add_co_ci_u32_e64 v7, s0, s9, v7, s0
	v_sub_nc_u16 v8, v78, v8
	s_waitcnt lgkmcnt(0)
	s_barrier
	buffer_gl0_inv
	s_clause 0x6
	global_load_dword v23, v[18:19], off offset:1400
	global_load_dword v51, v102, s[8:9] offset:1400
	global_load_dword v53, v[16:17], off offset:1400
	global_load_dword v93, v[6:7], off offset:1400
	;; [unrolled: 1-line block ×5, first 2 shown]
	v_mul_u32_u24_sdwa v7, v47, v9 dst_sel:DWORD dst_unused:UNUSED_PAD src0_sel:WORD_0 src1_sel:DWORD
	v_mul_u32_u24_sdwa v12, v86, v9 dst_sel:DWORD dst_unused:UNUSED_PAD src0_sel:WORD_0 src1_sel:DWORD
	v_lshlrev_b32_sdwa v103, v100, v8 dst_sel:DWORD dst_unused:UNUSED_PAD src0_sel:DWORD src1_sel:WORD_0
	v_lshrrev_b32_e32 v6, 22, v11
	v_mul_u32_u24_sdwa v8, v90, v9 dst_sel:DWORD dst_unused:UNUSED_PAD src0_sel:WORD_0 src1_sel:DWORD
	v_mul_u32_u24_sdwa v10, v80, v9 dst_sel:DWORD dst_unused:UNUSED_PAD src0_sel:WORD_0 src1_sel:DWORD
	v_lshrrev_b32_e32 v7, 22, v7
	v_lshrrev_b32_e32 v106, 22, v12
	v_mul_lo_u16 v6, 0x168, v6
	v_lshrrev_b32_e32 v8, 22, v8
	v_mul_u32_u24_sdwa v9, v84, v9 dst_sel:DWORD dst_unused:UNUSED_PAD src0_sel:WORD_0 src1_sel:DWORD
	v_lshrrev_b32_e32 v10, 22, v10
	v_mul_lo_u16 v7, 0x168, v7
	v_mul_lo_u16 v11, 0x168, v106
	v_sub_nc_u16 v6, v82, v6
	v_mul_lo_u16 v8, 0x168, v8
	v_lshrrev_b32_e32 v9, 22, v9
	v_mul_lo_u16 v10, 0x168, v10
	v_sub_nc_u16 v7, v47, v7
	v_sub_nc_u16 v11, v86, v11
	v_lshlrev_b32_sdwa v107, v100, v6 dst_sel:DWORD dst_unused:UNUSED_PAD src0_sel:DWORD src1_sel:WORD_0
	v_sub_nc_u16 v6, v90, v8
	v_mul_lo_u16 v8, 0x168, v9
	v_lshlrev_b32_sdwa v109, v100, v7 dst_sel:DWORD dst_unused:UNUSED_PAD src0_sel:DWORD src1_sel:WORD_0
	v_sub_nc_u16 v7, v80, v10
	v_lshlrev_b32_sdwa v108, v100, v11 dst_sel:DWORD dst_unused:UNUSED_PAD src0_sel:DWORD src1_sel:WORD_0
	v_lshlrev_b32_sdwa v110, v100, v6 dst_sel:DWORD dst_unused:UNUSED_PAD src0_sel:DWORD src1_sel:WORD_0
	global_load_dword v111, v103, s[8:9] offset:1400
	v_sub_nc_u16 v6, v84, v8
	v_lshlrev_b32_sdwa v114, v100, v7 dst_sel:DWORD dst_unused:UNUSED_PAD src0_sel:DWORD src1_sel:WORD_0
	v_add_co_u32 v89, s0, 0x800, v18
	s_clause 0x2
	global_load_dword v112, v109, s[8:9] offset:1400
	global_load_dword v113, v107, s[8:9] offset:1400
	;; [unrolled: 1-line block ×3, first 2 shown]
	v_lshlrev_b32_sdwa v116, v100, v6 dst_sel:DWORD dst_unused:UNUSED_PAD src0_sel:DWORD src1_sel:WORD_0
	s_clause 0x1
	global_load_dword v117, v110, s[8:9] offset:1400
	global_load_dword v118, v114, s[8:9] offset:1400
	v_add_co_ci_u32_e64 v90, s0, 0, v19, s0
	s_clause 0x1
	global_load_dword v119, v116, s[8:9] offset:1400
	global_load_dword v120, v[89:90], off offset:216
	v_add_nc_u32_e32 v95, 0x1600, v25
	ds_read2_b32 v[6:7], v95 offset0:32 offset1:128
	ds_read2_b32 v[8:9], v29 offset0:32 offset1:128
	;; [unrolled: 1-line block ×4, first 2 shown]
	v_add_nc_u32_e32 v94, 0x2200, v25
	v_cmp_lt_u32_e64 s0, 0x47, v22
	s_waitcnt vmcnt(10) lgkmcnt(3)
	v_pk_mul_f16 v100, v96, v7 op_sel:[0,1]
	v_pk_mul_f16 v122, v23, v6 op_sel:[0,1]
	s_waitcnt vmcnt(8) lgkmcnt(2)
	v_pk_mul_f16 v124, v8, v105 op_sel:[0,1]
	v_pk_fma_f16 v121, v96, v7, v100 op_sel:[0,0,1] op_sel_hi:[1,1,0]
	v_pk_fma_f16 v123, v96, v7, v100 op_sel:[0,0,1] op_sel_hi:[1,0,0] neg_lo:[1,0,0] neg_hi:[1,0,0]
	v_add_nc_u32_e32 v96, 0x1e00, v25
	ds_read2_b32 v[100:101], v94 offset0:32 offset1:128
	v_pk_fma_f16 v125, v23, v6, v122 op_sel:[0,0,1] op_sel_hi:[1,1,0]
	v_pk_fma_f16 v122, v23, v6, v122 op_sel:[0,0,1] op_sel_hi:[1,0,0] neg_lo:[1,0,0] neg_hi:[1,0,0]
	v_pk_mul_f16 v23, v9, v104 op_sel:[0,1]
	ds_read2_b32 v[6:7], v96 offset0:96 offset1:192
	v_pk_fma_f16 v126, v8, v105, v124 op_sel:[0,0,1] op_sel_hi:[1,1,0]
	v_pk_fma_f16 v105, v8, v105, v124 op_sel:[0,0,1] op_sel_hi:[1,0,0] neg_lo:[0,0,1] neg_hi:[0,0,1]
	v_pk_fma_f16 v127, v9, v104, v23 op_sel:[0,0,1] op_sel_hi:[1,1,0]
	v_pk_fma_f16 v104, v9, v104, v23 op_sel:[0,0,1] op_sel_hi:[1,0,0] neg_lo:[0,0,1] neg_hi:[0,0,1]
	ds_read2_b32 v[8:9], v41 offset0:96 offset1:192
	s_waitcnt vmcnt(7) lgkmcnt(4)
	v_pk_mul_f16 v124, v11, v111 op_sel:[0,1]
	s_waitcnt vmcnt(5)
	v_pk_mul_f16 v23, v10, v113 op_sel:[0,1]
	v_pk_fma_f16 v128, v11, v111, v124 op_sel:[0,0,1] op_sel_hi:[1,1,0]
	s_waitcnt vmcnt(4) lgkmcnt(3)
	v_pk_mul_f16 v129, v13, v115 op_sel:[0,1]
	v_pk_fma_f16 v11, v11, v111, v124 op_sel:[0,0,1] op_sel_hi:[1,0,0] neg_lo:[0,0,1] neg_hi:[0,0,1]
	s_waitcnt vmcnt(3)
	v_pk_mul_f16 v124, v12, v117 op_sel:[0,1]
	v_pk_fma_f16 v111, v10, v113, v23 op_sel:[0,0,1] op_sel_hi:[1,1,0]
	v_pk_fma_f16 v10, v10, v113, v23 op_sel:[0,0,1] op_sel_hi:[1,0,0] neg_lo:[0,0,1] neg_hi:[0,0,1]
	v_pk_fma_f16 v113, v13, v115, v129 op_sel:[0,0,1] op_sel_hi:[1,1,0]
	s_waitcnt vmcnt(2) lgkmcnt(2)
	v_pk_mul_f16 v23, v101, v118 op_sel:[0,1]
	v_pk_fma_f16 v13, v13, v115, v129 op_sel:[0,0,1] op_sel_hi:[1,0,0] neg_lo:[0,0,1] neg_hi:[0,0,1]
	v_pk_fma_f16 v115, v12, v117, v124 op_sel:[0,0,1] op_sel_hi:[1,1,0]
	s_waitcnt vmcnt(1)
	v_pk_mul_f16 v129, v100, v119 op_sel:[0,1]
	v_pk_fma_f16 v12, v12, v117, v124 op_sel:[0,0,1] op_sel_hi:[1,0,0] neg_lo:[0,0,1] neg_hi:[0,0,1]
	s_waitcnt vmcnt(0) lgkmcnt(1)
	v_pk_mul_f16 v124, v6, v120 op_sel:[0,1]
	v_pk_fma_f16 v117, v101, v118, v23 op_sel:[0,0,1] op_sel_hi:[1,1,0]
	v_pk_fma_f16 v101, v101, v118, v23 op_sel:[0,0,1] op_sel_hi:[1,0,0] neg_lo:[0,0,1] neg_hi:[0,0,1]
	v_pk_fma_f16 v118, v100, v119, v129 op_sel:[0,0,1] op_sel_hi:[1,1,0]
	v_pk_fma_f16 v100, v100, v119, v129 op_sel:[0,0,1] op_sel_hi:[1,0,0] neg_lo:[0,0,1] neg_hi:[0,0,1]
	v_pk_fma_f16 v119, v6, v120, v124 op_sel:[0,0,1] op_sel_hi:[1,1,0]
	s_waitcnt lgkmcnt(0)
	v_pk_mul_f16 v129, v8, v53 op_sel:[0,1]
	v_pk_fma_f16 v6, v6, v120, v124 op_sel:[0,0,1] op_sel_hi:[1,0,0] neg_lo:[0,0,1] neg_hi:[0,0,1]
	v_pk_mul_f16 v120, v9, v93 op_sel:[0,1]
	v_pk_mul_f16 v23, v7, v51 op_sel:[0,1]
	v_bfi_b32 v10, 0xffff, v111, v10
	v_pk_fma_f16 v130, v8, v53, v129 op_sel:[0,0,1] op_sel_hi:[1,1,0]
	v_pk_fma_f16 v8, v8, v53, v129 op_sel:[0,0,1] op_sel_hi:[1,0,0] neg_lo:[0,0,1] neg_hi:[0,0,1]
	v_pk_fma_f16 v129, v9, v93, v120 op_sel:[0,0,1] op_sel_hi:[1,1,0]
	v_pk_fma_f16 v9, v9, v93, v120 op_sel:[0,0,1] op_sel_hi:[1,0,0] neg_lo:[0,0,1] neg_hi:[0,0,1]
	ds_read_b32 v120, v25
	v_lshl_add_u32 v93, v88, 2, 0
	v_lshl_add_u32 v88, v84, 2, 0
	;; [unrolled: 1-line block ×4, first 2 shown]
	ds_read_b32 v86, v97
	v_pk_fma_f16 v124, v7, v51, v23 op_sel:[0,0,1] op_sel_hi:[1,1,0]
	v_pk_fma_f16 v7, v7, v51, v23 op_sel:[0,0,1] op_sel_hi:[1,0,0] neg_lo:[0,0,1] neg_hi:[0,0,1]
	v_lshl_add_u32 v23, v47, 2, 0
	v_lshl_add_u32 v47, v45, 2, 0
	;; [unrolled: 1-line block ×3, first 2 shown]
	v_lshlrev_b32_e32 v82, 2, v91
	v_bfi_b32 v8, 0xffff, v130, v8
	v_bfi_b32 v91, 0xffff, v121, v123
	;; [unrolled: 1-line block ×3, first 2 shown]
	ds_read_b32 v122, v93
	ds_read_b32 v123, v47
	;; [unrolled: 1-line block ×3, first 2 shown]
	ds_read_b32 v130, v25 offset:11136
	ds_read_b32 v131, v81
	ds_read_b32 v132, v83
	;; [unrolled: 1-line block ×4, first 2 shown]
	v_lshl_add_u32 v51, v78, 2, 0
	v_cndmask_b32_e64 v78, 0, 0xb40, s0
	v_bfi_b32 v9, 0xffff, v129, v9
	ds_read_b32 v135, v88
	ds_read_b32 v136, v84
	;; [unrolled: 1-line block ×6, first 2 shown]
	s_waitcnt lgkmcnt(15)
	v_pk_add_f16 v121, v120, v121 neg_lo:[0,1] neg_hi:[0,1]
	s_waitcnt lgkmcnt(0)
	v_add3_u32 v78, 0, v78, v82
	s_barrier
	buffer_gl0_inv
	v_pk_add_f16 v91, v86, v91 neg_lo:[0,1] neg_hi:[0,1]
	v_pk_fma_f16 v82, v120, 2.0, v121 op_sel_hi:[1,0,1] neg_lo:[0,0,1] neg_hi:[0,0,1]
	v_bfi_b32 v6, 0xffff, v119, v6
	v_bfi_b32 v7, 0xffff, v124, v7
	v_pk_fma_f16 v86, v86, 2.0, v91 op_sel_hi:[1,0,1] neg_lo:[0,0,1] neg_hi:[0,0,1]
	v_pk_add_f16 v8, v125, v8 neg_lo:[0,1] neg_hi:[0,1]
	ds_write_b32 v25, v82
	ds_write_b32 v25, v121 offset:1440
	ds_write_b32 v97, v86
	v_bfi_b32 v82, 0xffff, v126, v105
	v_bfi_b32 v86, 0xffff, v127, v104
	ds_write_b32 v97, v91 offset:1440
	v_pk_fma_f16 v91, v125, 2.0, v8 op_sel_hi:[1,0,1] neg_lo:[0,0,1] neg_hi:[0,0,1]
	v_pk_add_f16 v9, v132, v9 neg_lo:[0,1] neg_hi:[0,1]
	v_pk_add_f16 v82, v131, v82 neg_lo:[0,1] neg_hi:[0,1]
	;; [unrolled: 1-line block ×4, first 2 shown]
	ds_write_b32 v85, v91
	v_pk_fma_f16 v91, v132, 2.0, v9 op_sel_hi:[1,0,1] neg_lo:[0,0,1] neg_hi:[0,0,1]
	v_pk_fma_f16 v104, v131, 2.0, v82 op_sel_hi:[1,0,1] neg_lo:[0,0,1] neg_hi:[0,0,1]
	;; [unrolled: 1-line block ×4, first 2 shown]
	ds_write_b32 v85, v8 offset:1440
	ds_write_b32 v78, v91
	ds_write_b32 v78, v9 offset:1440
	ds_write2_b32 v99, v104, v105 offset0:104 offset1:200
	ds_write2_b32 v87, v119, v82 offset0:40 offset1:208
	v_add_nc_u32_e32 v8, 0x1200, v25
	v_bfi_b32 v9, 0xffff, v118, v100
	v_mul_u32_u24_e32 v82, 0xb40, v98
	v_pk_add_f16 v7, v123, v7 neg_lo:[0,1] neg_hi:[0,1]
	v_bfi_b32 v91, 0xffff, v117, v101
	ds_write2_b32 v8, v86, v6 offset0:48 offset1:144
	v_pk_add_f16 v6, v135, v9 neg_lo:[0,1] neg_hi:[0,1]
	v_add3_u32 v9, 0, v82, v102
	v_pk_fma_f16 v82, v123, 2.0, v7 op_sel_hi:[1,0,1] neg_lo:[0,0,1] neg_hi:[0,0,1]
	v_add_nc_u32_e32 v86, 0, v116
	v_pk_mul_f16 v78, v130, v112 op_sel:[0,1]
	v_pk_fma_f16 v87, v135, 2.0, v6 op_sel_hi:[1,0,1] neg_lo:[0,0,1] neg_hi:[0,0,1]
	ds_write_b32 v9, v82
	ds_write_b32 v9, v7 offset:1440
	ds_write_b32 v86, v87 offset:5760
	v_bfi_b32 v7, 0xffff, v115, v12
	v_pk_add_f16 v9, v136, v91 neg_lo:[0,1] neg_hi:[0,1]
	v_bfi_b32 v12, 0xffff, v113, v13
	ds_write_b32 v86, v6 offset:7200
	v_add_nc_u32_e32 v6, 0, v114
	v_pk_add_f16 v7, v133, v7 neg_lo:[0,1] neg_hi:[0,1]
	v_pk_fma_f16 v13, v136, 2.0, v9 op_sel_hi:[1,0,1] neg_lo:[0,0,1] neg_hi:[0,0,1]
	v_mul_u32_u24_e32 v86, 0xb40, v106
	v_pk_add_f16 v12, v137, v12 neg_lo:[0,1] neg_hi:[0,1]
	v_add_nc_u32_e32 v82, 0, v110
	v_pk_fma_f16 v8, v130, v112, v78 op_sel:[0,0,1] op_sel_hi:[1,1,0]
	v_pk_fma_f16 v78, v130, v112, v78 op_sel:[0,0,1] op_sel_hi:[1,0,0] neg_lo:[0,0,1] neg_hi:[0,0,1]
	v_pk_fma_f16 v87, v133, 2.0, v7 op_sel_hi:[1,0,1] neg_lo:[0,0,1] neg_hi:[0,0,1]
	ds_write_b32 v6, v13 offset:5760
	ds_write_b32 v6, v9 offset:7200
	v_add3_u32 v6, 0, v86, v108
	v_pk_fma_f16 v9, v137, 2.0, v12 op_sel_hi:[1,0,1] neg_lo:[0,0,1] neg_hi:[0,0,1]
	ds_write_b32 v82, v7 offset:7200
	v_bfi_b32 v7, 0xffff, v128, v11
	v_bfi_b32 v8, 0xffff, v8, v78
	ds_write_b32 v82, v87 offset:5760
	ds_write_b32 v6, v9
	v_pk_add_f16 v9, v138, v10 neg_lo:[0,1] neg_hi:[0,1]
	ds_write_b32 v6, v12 offset:1440
	v_pk_add_f16 v6, v139, v7 neg_lo:[0,1] neg_hi:[0,1]
	v_pk_add_f16 v8, v140, v8 neg_lo:[0,1] neg_hi:[0,1]
	v_add_nc_u32_e32 v7, 0, v107
	v_pk_fma_f16 v10, v138, 2.0, v9 op_sel_hi:[1,0,1] neg_lo:[0,0,1] neg_hi:[0,0,1]
	v_add_nc_u32_e32 v11, 0, v103
	v_pk_fma_f16 v12, v139, 2.0, v6 op_sel_hi:[1,0,1] neg_lo:[0,0,1] neg_hi:[0,0,1]
	;; [unrolled: 2-line block ×3, first 2 shown]
	ds_write_b32 v7, v10 offset:8640
	ds_write_b32 v7, v9 offset:10080
	;; [unrolled: 1-line block ×6, first 2 shown]
	v_add_co_u32 v6, s0, 0x800, v14
	v_lshlrev_b64 v[8:9], 2, v[74:75]
	v_add_co_ci_u32_e64 v7, s0, 0, v15, s0
	v_add_co_u32 v10, s0, 0x800, v16
	v_add_co_ci_u32_e64 v11, s0, 0, v17, s0
	v_add_co_u32 v74, s0, s8, v8
	s_waitcnt lgkmcnt(0)
	s_barrier
	buffer_gl0_inv
	s_clause 0x1
	global_load_dword v100, v[6:7], off offset:792
	global_load_dword v101, v[10:11], off offset:792
	v_add_co_ci_u32_e64 v75, s0, s9, v9, s0
	v_lshlrev_b64 v[6:7], 2, v[72:73]
	v_add_co_u32 v86, s0, 0x800, v74
	v_lshlrev_b64 v[12:13], 2, v[70:71]
	v_add_co_ci_u32_e64 v87, s0, 0, v75, s0
	global_load_dword v98, v[89:90], off offset:792
	v_add_co_u32 v78, s0, s8, v6
	v_add_co_ci_u32_e64 v82, s0, s9, v7, s0
	v_add_co_u32 v72, s0, s8, v12
	v_add_co_ci_u32_e64 v73, s0, s9, v13, s0
	v_add_co_u32 v70, s0, 0x800, v78
	v_lshlrev_b64 v[10:11], 2, v[76:77]
	v_add_co_ci_u32_e64 v71, s0, 0, v82, s0
	v_add_co_u32 v76, s0, 0x800, v72
	v_add_co_ci_u32_e64 v77, s0, 0, v73, s0
	s_clause 0x1
	global_load_dword v102, v[86:87], off offset:792
	global_load_dword v103, v[70:71], off offset:792
	v_add_co_u32 v70, s0, s8, v10
	v_add_co_ci_u32_e64 v71, s0, s9, v11, s0
	v_subrev_nc_u32_e32 v91, 48, v22
	v_cmp_gt_u32_e64 s0, 48, v22
	v_cndmask_b32_e64 v91, v91, v45, s0
	v_add_co_u32 v86, s0, 0x800, v70
	v_add_co_ci_u32_e64 v87, s0, 0, v71, s0
	s_clause 0x1
	global_load_dword v45, v[76:77], off offset:792
	global_load_dword v104, v[86:87], off offset:792
	v_lshlrev_b64 v[76:77], 2, v[91:92]
	v_lshlrev_b32_e32 v91, 2, v91
	v_add_co_u32 v76, s0, s8, v76
	v_add_co_ci_u32_e64 v77, s0, s9, v77, s0
	v_add_co_u32 v76, s0, 0x800, v76
	v_add_co_ci_u32_e64 v77, s0, 0, v77, s0
	;; [unrolled: 2-line block ×3, first 2 shown]
	s_clause 0x1
	global_load_dword v105, v[76:77], off offset:792
	global_load_dword v107, v[18:19], off offset:472
	v_add_nc_u32_e32 v76, 0x270, v22
	v_mov_b32_e32 v77, v92
	global_load_dword v106, v[18:19], off offset:88
	v_lshlrev_b64 v[76:77], 2, v[76:77]
	v_add_co_u32 v76, s0, s8, v76
	v_add_co_ci_u32_e64 v77, s0, s9, v77, s0
	v_add_co_u32 v76, s0, 0x800, v76
	v_add_co_ci_u32_e64 v77, s0, 0, v77, s0
	s_clause 0x1
	global_load_dword v108, v[76:77], off offset:792
	global_load_dword v109, v[89:90], off offset:984
	v_add_nc_u32_e32 v76, 0x210, v22
	v_mov_b32_e32 v77, v92
	global_load_dword v92, v[89:90], off offset:1368
	v_lshlrev_b64 v[76:77], 2, v[76:77]
	v_add_co_u32 v76, s0, s8, v76
	v_add_co_ci_u32_e64 v77, s0, s9, v77, s0
	v_add_co_u32 v76, s0, 0x800, v76
	v_add_co_ci_u32_e64 v77, s0, 0, v77, s0
	s_clause 0x1
	global_load_dword v110, v[89:90], off offset:1752
	global_load_dword v111, v[76:77], off offset:792
	ds_read2_b32 v[76:77], v95 offset0:32 offset1:128
	ds_read2_b32 v[86:87], v41 offset0:96 offset1:192
	;; [unrolled: 1-line block ×3, first 2 shown]
	v_cmp_lt_u32_e64 s0, 47, v22
	s_waitcnt lgkmcnt(2)
	v_lshrrev_b32_e32 v99, 16, v76
	v_lshrrev_b32_e32 v114, 16, v77
	s_waitcnt lgkmcnt(0)
	v_lshrrev_b32_e32 v120, 16, v90
	s_waitcnt vmcnt(14)
	v_mul_f16_sdwa v115, v100, v114 dst_sel:DWORD dst_unused:UNUSED_PAD src0_sel:WORD_1 src1_sel:DWORD
	v_mul_f16_sdwa v116, v100, v77 dst_sel:DWORD dst_unused:UNUSED_PAD src0_sel:WORD_1 src1_sel:DWORD
	s_waitcnt vmcnt(13)
	v_mul_f16_sdwa v117, v101, v86 dst_sel:DWORD dst_unused:UNUSED_PAD src0_sel:WORD_1 src1_sel:DWORD
	v_fmac_f16_e32 v115, v100, v77
	v_lshrrev_b32_e32 v77, 16, v87
	v_fma_f16 v100, v100, v114, -v116
	s_waitcnt vmcnt(12)
	v_mul_f16_sdwa v113, v98, v99 dst_sel:DWORD dst_unused:UNUSED_PAD src0_sel:WORD_1 src1_sel:DWORD
	v_mul_f16_sdwa v112, v98, v76 dst_sel:DWORD dst_unused:UNUSED_PAD src0_sel:WORD_1 src1_sel:DWORD
	v_fmac_f16_e32 v113, v98, v76
	v_lshrrev_b32_e32 v76, 16, v86
	v_fma_f16 v112, v98, v99, -v112
	ds_read2_b32 v[98:99], v96 offset0:96 offset1:192
	v_mul_f16_sdwa v118, v101, v76 dst_sel:DWORD dst_unused:UNUSED_PAD src0_sel:WORD_1 src1_sel:DWORD
	v_fma_f16 v114, v101, v76, -v117
	v_lshrrev_b32_e32 v76, 16, v89
	v_fmac_f16_e32 v118, v101, v86
	ds_read_b32 v86, v25
	s_waitcnt vmcnt(11)
	v_mul_f16_sdwa v101, v77, v102 dst_sel:DWORD dst_unused:UNUSED_PAD src0_sel:DWORD src1_sel:WORD_1
	v_mul_f16_sdwa v116, v87, v102 dst_sel:DWORD dst_unused:UNUSED_PAD src0_sel:DWORD src1_sel:WORD_1
	s_waitcnt vmcnt(10)
	v_mul_f16_sdwa v117, v89, v103 dst_sel:DWORD dst_unused:UNUSED_PAD src0_sel:DWORD src1_sel:WORD_1
	v_mul_f16_sdwa v119, v76, v103 dst_sel:DWORD dst_unused:UNUSED_PAD src0_sel:DWORD src1_sel:WORD_1
	v_fmac_f16_e32 v101, v87, v102
	v_fma_f16 v102, v77, v102, -v116
	v_fma_f16 v116, v76, v103, -v117
	ds_read_b32 v117, v93
	ds_read_b32 v121, v47
	ds_read_b32 v122, v25 offset:11136
	ds_read_b32 v123, v81
	ds_read_b32 v124, v83
	;; [unrolled: 1-line block ×6, first 2 shown]
	v_fmac_f16_e32 v119, v89, v103
	s_waitcnt lgkmcnt(10)
	v_lshrrev_b32_e32 v87, 16, v99
	v_lshrrev_b32_e32 v77, 16, v98
	s_waitcnt vmcnt(9)
	v_mul_f16_sdwa v103, v120, v45 dst_sel:DWORD dst_unused:UNUSED_PAD src0_sel:DWORD src1_sel:WORD_1
	v_mul_f16_sdwa v76, v90, v45 dst_sel:DWORD dst_unused:UNUSED_PAD src0_sel:DWORD src1_sel:WORD_1
	s_waitcnt lgkmcnt(9)
	v_lshrrev_b32_e32 v127, 16, v86
	v_sub_f16_e32 v113, v86, v113
	v_fmac_f16_e32 v103, v90, v45
	s_waitcnt vmcnt(8)
	v_mul_f16_sdwa v89, v98, v104 dst_sel:DWORD dst_unused:UNUSED_PAD src0_sel:DWORD src1_sel:WORD_1
	v_fma_f16 v45, v120, v45, -v76
	v_sub_f16_e32 v112, v127, v112
	v_fma_f16 v86, v86, 2.0, -v113
	v_mul_f16_sdwa v120, v77, v104 dst_sel:DWORD dst_unused:UNUSED_PAD src0_sel:DWORD src1_sel:WORD_1
	s_waitcnt lgkmcnt(2)
	v_sub_f16_e32 v103, v126, v103
	s_waitcnt lgkmcnt(1)
	v_lshrrev_b32_e32 v135, 16, v128
	v_fma_f16 v90, v127, 2.0, -v112
	v_sub_f16_e32 v115, v128, v115
	s_waitcnt lgkmcnt(0)
	v_lshrrev_b32_e32 v136, 16, v130
	v_fma_f16 v127, v77, v104, -v89
	v_sub_f16_e32 v100, v135, v100
	v_fmac_f16_e32 v120, v98, v104
	v_fma_f16 v128, v128, 2.0, -v115
	v_sub_f16_e32 v118, v130, v118
	v_sub_f16_e32 v114, v136, v114
	s_waitcnt vmcnt(7)
	v_mul_f16_sdwa v129, v87, v105 dst_sel:DWORD dst_unused:UNUSED_PAD src0_sel:DWORD src1_sel:WORD_1
	v_mul_f16_sdwa v76, v99, v105 dst_sel:DWORD dst_unused:UNUSED_PAD src0_sel:DWORD src1_sel:WORD_1
	v_fma_f16 v135, v135, 2.0, -v100
	v_pack_b32_f16 v100, v115, v100
	v_fma_f16 v130, v130, 2.0, -v118
	v_fmac_f16_e32 v129, v99, v105
	v_pack_b32_f16 v99, v86, v90
	v_fma_f16 v98, v87, v105, -v76
	ds_read_b32 v104, v88
	ds_read_b32 v105, v84
	;; [unrolled: 1-line block ×6, first 2 shown]
	ds_read2_b32 v[76:77], v94 offset0:32 offset1:128
	ds_read2_b32 v[86:87], v27 offset0:96 offset1:192
	;; [unrolled: 1-line block ×3, first 2 shown]
	s_waitcnt vmcnt(0) lgkmcnt(0)
	s_barrier
	buffer_gl0_inv
	ds_write_b32 v25, v99
	v_pack_b32_f16 v99, v113, v112
	v_pack_b32_f16 v112, v128, v135
	v_fma_f16 v136, v136, 2.0, -v114
	ds_write_b32 v25, v99 offset:2880
	ds_write_b32 v97, v112
	ds_write_b32 v97, v100 offset:2880
	v_lshrrev_b32_e32 v99, 16, v124
	v_pack_b32_f16 v113, v130, v136
	v_pack_b32_f16 v114, v118, v114
	v_sub_f16_e32 v100, v124, v101
	v_lshrrev_b32_e32 v101, 16, v123
	v_sub_f16_e32 v102, v99, v102
	ds_write_b32 v85, v113
	ds_write_b32 v85, v114 offset:2880
	v_lshrrev_b32_e32 v112, 16, v126
	v_fma_f16 v113, v124, 2.0, -v100
	v_sub_f16_e32 v114, v123, v119
	v_sub_f16_e32 v115, v101, v116
	v_fma_f16 v99, v99, 2.0, -v102
	v_sub_f16_e32 v45, v112, v45
	v_pack_b32_f16 v100, v100, v102
	v_fma_f16 v116, v123, 2.0, -v114
	v_fma_f16 v101, v101, 2.0, -v115
	v_pack_b32_f16 v99, v113, v99
	v_fma_f16 v118, v126, 2.0, -v103
	v_fma_f16 v112, v112, 2.0, -v45
	v_pack_b32_f16 v102, v114, v115
	v_pack_b32_f16 v101, v116, v101
	ds_write_b32 v83, v99
	ds_write_b32 v83, v100 offset:2880
	v_lshrrev_b32_e32 v99, 16, v117
	v_pack_b32_f16 v112, v118, v112
	v_sub_f16_e32 v100, v117, v120
	ds_write_b32 v81, v101
	ds_write_b32 v81, v102 offset:2880
	v_lshrrev_b32_e32 v101, 16, v121
	v_sub_f16_e32 v102, v99, v127
	ds_write_b32 v43, v112
	v_fma_f16 v112, v117, 2.0, -v100
	v_sub_f16_e32 v113, v121, v129
	v_sub_f16_e32 v98, v101, v98
	v_fma_f16 v99, v99, 2.0, -v102
	v_pack_b32_f16 v45, v103, v45
	v_cndmask_b32_e64 v114, 0, 0x1680, s0
	v_fma_f16 v115, v121, 2.0, -v113
	v_fma_f16 v101, v101, 2.0, -v98
	v_pack_b32_f16 v99, v112, v99
	v_pack_b32_f16 v100, v100, v102
	ds_write_b32 v43, v45 offset:2880
	v_lshrrev_b32_e32 v45, 16, v87
	v_add3_u32 v91, 0, v114, v91
	v_pack_b32_f16 v101, v115, v101
	ds_write_b32 v93, v99
	v_mul_f16_sdwa v99, v87, v106 dst_sel:DWORD dst_unused:UNUSED_PAD src0_sel:DWORD src1_sel:WORD_1
	ds_write_b32 v93, v100 offset:2880
	v_lshrrev_b32_e32 v100, 16, v89
	v_mul_f16_sdwa v102, v45, v106 dst_sel:DWORD dst_unused:UNUSED_PAD src0_sel:DWORD src1_sel:WORD_1
	ds_write_b32 v91, v101
	v_fma_f16 v45, v45, v106, -v99
	v_mul_f16_sdwa v99, v89, v107 dst_sel:DWORD dst_unused:UNUSED_PAD src0_sel:DWORD src1_sel:WORD_1
	v_mul_f16_sdwa v101, v100, v107 dst_sel:DWORD dst_unused:UNUSED_PAD src0_sel:DWORD src1_sel:WORD_1
	v_fmac_f16_e32 v102, v87, v106
	v_lshrrev_b32_e32 v87, 16, v122
	v_lshrrev_b32_e32 v106, 16, v76
	v_fma_f16 v99, v100, v107, -v99
	v_fmac_f16_e32 v101, v89, v107
	v_sub_f16_e32 v89, v131, v102
	v_mul_f16_sdwa v100, v87, v108 dst_sel:DWORD dst_unused:UNUSED_PAD src0_sel:DWORD src1_sel:WORD_1
	v_mul_f16_sdwa v102, v122, v108 dst_sel:DWORD dst_unused:UNUSED_PAD src0_sel:DWORD src1_sel:WORD_1
	;; [unrolled: 1-line block ×3, first 2 shown]
	v_lshrrev_b32_e32 v103, 16, v131
	v_lshrrev_b32_e32 v112, 16, v132
	v_fmac_f16_e32 v100, v122, v108
	v_fma_f16 v87, v87, v108, -v102
	v_lshrrev_b32_e32 v102, 16, v134
	v_mul_f16_sdwa v108, v106, v109 dst_sel:DWORD dst_unused:UNUSED_PAD src0_sel:DWORD src1_sel:WORD_1
	v_fma_f16 v106, v106, v109, -v107
	v_sub_f16_e32 v100, v134, v100
	v_sub_f16_e32 v45, v103, v45
	;; [unrolled: 1-line block ×3, first 2 shown]
	v_fmac_f16_e32 v108, v76, v109
	v_lshrrev_b32_e32 v76, 16, v104
	v_sub_f16_e32 v101, v132, v101
	v_sub_f16_e32 v99, v112, v99
	v_pack_b32_f16 v98, v113, v98
	v_fma_f16 v107, v134, 2.0, -v100
	v_fma_f16 v102, v102, 2.0, -v87
	v_sub_f16_e32 v108, v104, v108
	v_sub_f16_e32 v106, v76, v106
	v_pack_b32_f16 v109, v89, v45
	v_pack_b32_f16 v113, v101, v99
	;; [unrolled: 1-line block ×3, first 2 shown]
	v_lshrrev_b32_e32 v107, 16, v77
	v_pack_b32_f16 v114, v108, v106
	ds_write_b32 v91, v98 offset:2880
	ds_write2_b32 v35, v109, v113 offset0:64 offset1:160
	v_lshrrev_b32_e32 v35, 16, v86
	v_mul_f16_sdwa v98, v77, v92 dst_sel:DWORD dst_unused:UNUSED_PAD src0_sel:DWORD src1_sel:WORD_1
	v_mul_f16_sdwa v91, v107, v92 dst_sel:DWORD dst_unused:UNUSED_PAD src0_sel:DWORD src1_sel:WORD_1
	ds_write2_b32 v79, v102, v114 offset0:16 offset1:160
	v_lshrrev_b32_e32 v79, 16, v90
	v_mul_f16_sdwa v102, v35, v110 dst_sel:DWORD dst_unused:UNUSED_PAD src0_sel:DWORD src1_sel:WORD_1
	v_fma_f16 v76, v76, 2.0, -v106
	v_fmac_f16_e32 v91, v77, v92
	v_mul_f16_sdwa v77, v86, v110 dst_sel:DWORD dst_unused:UNUSED_PAD src0_sel:DWORD src1_sel:WORD_1
	v_mul_f16_sdwa v109, v79, v111 dst_sel:DWORD dst_unused:UNUSED_PAD src0_sel:DWORD src1_sel:WORD_1
	v_fma_f16 v92, v107, v92, -v98
	v_fmac_f16_e32 v102, v86, v110
	v_lshrrev_b32_e32 v86, 16, v105
	v_fma_f16 v35, v35, v110, -v77
	v_fmac_f16_e32 v109, v90, v111
	v_sub_f16_e32 v77, v105, v91
	v_mul_f16_sdwa v90, v90, v111 dst_sel:DWORD dst_unused:UNUSED_PAD src0_sel:DWORD src1_sel:WORD_1
	v_sub_f16_e32 v91, v86, v92
	v_fma_f16 v92, v104, 2.0, -v108
	v_lshrrev_b32_e32 v104, 16, v125
	v_fma_f16 v98, v105, 2.0, -v77
	v_fma_f16 v79, v79, v111, -v90
	v_fma_f16 v86, v86, 2.0, -v91
	v_pack_b32_f16 v77, v77, v91
	v_lshrrev_b32_e32 v91, 16, v133
	v_sub_f16_e32 v90, v125, v102
	v_sub_f16_e32 v35, v104, v35
	;; [unrolled: 1-line block ×3, first 2 shown]
	v_add_co_u32 v14, s0, 0x1000, v14
	v_sub_f16_e32 v79, v91, v79
	v_pack_b32_f16 v76, v92, v76
	v_pack_b32_f16 v86, v98, v86
	v_fma_f16 v92, v125, 2.0, -v90
	v_fma_f16 v98, v104, 2.0, -v35
	;; [unrolled: 1-line block ×8, first 2 shown]
	v_add_co_ci_u32_e64 v15, s0, 0, v15, s0
	v_add_co_u32 v16, s0, 0x1000, v16
	v_pack_b32_f16 v35, v90, v35
	v_add_co_ci_u32_e64 v17, s0, 0, v17, s0
	v_pack_b32_f16 v90, v92, v98
	v_pack_b32_f16 v45, v89, v45
	v_add_co_u32 v74, s0, 0x1000, v74
	v_pack_b32_f16 v89, v101, v99
	v_pack_b32_f16 v91, v103, v91
	v_pack_b32_f16 v79, v102, v79
	v_pack_b32_f16 v87, v100, v87
	v_add_co_ci_u32_e64 v75, s0, 0, v75, s0
	ds_write2_b32 v95, v76, v86 offset0:80 offset1:176
	ds_write2_b32 v27, v77, v35 offset1:96
	ds_write2_b32 v41, v90, v45 offset0:144 offset1:240
	ds_write2_b32 v29, v89, v91 offset0:80 offset1:176
	;; [unrolled: 1-line block ×3, first 2 shown]
	v_add_co_u32 v76, s0, 0x1000, v78
	v_add_co_ci_u32_e64 v77, s0, 0, v82, s0
	s_waitcnt lgkmcnt(0)
	s_barrier
	buffer_gl0_inv
	s_clause 0x2
	global_load_dword v35, v[18:19], off offset:1624
	global_load_dword v45, v[14:15], off offset:1624
	;; [unrolled: 1-line block ×3, first 2 shown]
	v_add_co_u32 v14, s0, 0x1000, v72
	v_add_co_ci_u32_e64 v15, s0, 0, v73, s0
	v_add_co_u32 v16, s0, 0x1000, v70
	v_add_co_ci_u32_e64 v17, s0, 0, v71, s0
	;; [unrolled: 2-line block ×6, first 2 shown]
	s_clause 0x5
	global_load_dword v72, v[74:75], off offset:1624
	global_load_dword v73, v[76:77], off offset:1624
	global_load_dword v74, v[14:15], off offset:1624
	global_load_dword v75, v[16:17], off offset:1624
	global_load_dword v76, v[18:19], off offset:1624
	global_load_dword v77, v[70:71], off offset:1624
	v_add_co_u32 v14, s0, s8, v64
	v_add_co_ci_u32_e64 v15, s0, s9, v65, s0
	v_add_co_u32 v14, s0, 0x1000, v14
	v_add_co_ci_u32_e64 v15, s0, 0, v15, s0
	;; [unrolled: 2-line block ×6, first 2 shown]
	v_lshlrev_b64 v[18:19], 2, v[58:59]
	s_clause 0x2
	global_load_dword v79, v[14:15], off offset:1624
	global_load_dword v82, v[16:17], off offset:1624
	;; [unrolled: 1-line block ×3, first 2 shown]
	v_lshlrev_b64 v[16:17], 2, v[56:57]
	v_add_co_u32 v14, s0, s8, v18
	v_add_co_ci_u32_e64 v15, s0, s9, v19, s0
	v_add_co_u32 v58, s0, s8, v16
	v_add_co_ci_u32_e64 v59, s0, s9, v17, s0
	;; [unrolled: 2-line block ×4, first 2 shown]
	v_lshlrev_b64 v[14:15], 2, v[54:55]
	s_clause 0x1
	global_load_dword v87, v[56:57], off offset:1624
	global_load_dword v89, v[58:59], off offset:1624
	v_add_co_u32 v54, s0, s8, v14
	v_add_co_ci_u32_e64 v55, s0, s9, v15, s0
	v_add_co_u32 v54, s0, 0x1000, v54
	v_add_co_ci_u32_e64 v55, s0, 0, v55, s0
	global_load_dword v90, v[54:55], off offset:1624
	ds_read2_b32 v[54:55], v95 offset0:32 offset1:128
	ds_read2_b32 v[56:57], v41 offset0:96 offset1:192
	;; [unrolled: 1-line block ×4, first 2 shown]
	s_waitcnt lgkmcnt(3)
	v_lshrrev_b32_e32 v41, 16, v54
	v_lshrrev_b32_e32 v91, 16, v55
	s_waitcnt lgkmcnt(2)
	v_lshrrev_b32_e32 v95, 16, v56
	v_lshrrev_b32_e32 v96, 16, v57
	s_waitcnt lgkmcnt(1)
	v_lshrrev_b32_e32 v99, 16, v59
	s_waitcnt lgkmcnt(0)
	v_lshrrev_b32_e32 v100, 16, v71
	s_waitcnt vmcnt(14)
	v_mul_f16_sdwa v29, v35, v54 dst_sel:DWORD dst_unused:UNUSED_PAD src0_sel:WORD_1 src1_sel:DWORD
	v_mul_f16_sdwa v92, v35, v41 dst_sel:DWORD dst_unused:UNUSED_PAD src0_sel:WORD_1 src1_sel:DWORD
	s_waitcnt vmcnt(12)
	v_mul_f16_sdwa v98, v78, v95 dst_sel:DWORD dst_unused:UNUSED_PAD src0_sel:WORD_1 src1_sel:DWORD
	v_fma_f16 v29, v35, v41, -v29
	v_mul_f16_sdwa v41, v45, v91 dst_sel:DWORD dst_unused:UNUSED_PAD src0_sel:WORD_1 src1_sel:DWORD
	v_fmac_f16_e32 v92, v35, v54
	v_mul_f16_sdwa v35, v45, v55 dst_sel:DWORD dst_unused:UNUSED_PAD src0_sel:WORD_1 src1_sel:DWORD
	v_mul_f16_sdwa v54, v78, v56 dst_sel:DWORD dst_unused:UNUSED_PAD src0_sel:WORD_1 src1_sel:DWORD
	v_fmac_f16_e32 v98, v78, v56
	v_fmac_f16_e32 v41, v45, v55
	v_lshrrev_b32_e32 v56, 16, v58
	v_fma_f16 v35, v45, v91, -v35
	v_fma_f16 v45, v78, v95, -v54
	ds_read2_b32 v[54:55], v94 offset0:32 offset1:128
	s_waitcnt vmcnt(10)
	v_mul_f16_sdwa v94, v58, v73 dst_sel:DWORD dst_unused:UNUSED_PAD src0_sel:DWORD src1_sel:WORD_1
	v_mul_f16_sdwa v95, v56, v73 dst_sel:DWORD dst_unused:UNUSED_PAD src0_sel:DWORD src1_sel:WORD_1
	;; [unrolled: 1-line block ×4, first 2 shown]
	v_fmac_f16_e32 v95, v58, v73
	s_waitcnt vmcnt(9)
	v_mul_f16_sdwa v58, v59, v74 dst_sel:DWORD dst_unused:UNUSED_PAD src0_sel:DWORD src1_sel:WORD_1
	v_fmac_f16_e32 v91, v57, v72
	v_fma_f16 v72, v96, v72, -v78
	v_fma_f16 v78, v56, v73, -v94
	v_lshrrev_b32_e32 v94, 16, v70
	ds_read2_b32 v[56:57], v27 offset0:96 offset1:192
	v_mul_f16_sdwa v73, v99, v74 dst_sel:DWORD dst_unused:UNUSED_PAD src0_sel:DWORD src1_sel:WORD_1
	s_waitcnt vmcnt(8)
	v_mul_f16_sdwa v96, v70, v75 dst_sel:DWORD dst_unused:UNUSED_PAD src0_sel:DWORD src1_sel:WORD_1
	s_waitcnt lgkmcnt(1)
	v_lshrrev_b32_e32 v101, 16, v55
	v_mul_f16_sdwa v27, v94, v75 dst_sel:DWORD dst_unused:UNUSED_PAD src0_sel:DWORD src1_sel:WORD_1
	v_fmac_f16_e32 v73, v59, v74
	v_fma_f16 v74, v99, v74, -v58
	ds_read2_b32 v[58:59], v37 offset0:32 offset1:128
	v_fmac_f16_e32 v27, v70, v75
	v_fma_f16 v70, v94, v75, -v96
	v_lshrrev_b32_e32 v94, 16, v54
	s_waitcnt vmcnt(7)
	v_mul_f16_sdwa v75, v100, v76 dst_sel:DWORD dst_unused:UNUSED_PAD src0_sel:DWORD src1_sel:WORD_1
	v_mul_f16_sdwa v96, v71, v76 dst_sel:DWORD dst_unused:UNUSED_PAD src0_sel:DWORD src1_sel:WORD_1
	s_waitcnt vmcnt(6)
	v_mul_f16_sdwa v99, v54, v77 dst_sel:DWORD dst_unused:UNUSED_PAD src0_sel:DWORD src1_sel:WORD_1
	v_mul_f16_sdwa v37, v94, v77 dst_sel:DWORD dst_unused:UNUSED_PAD src0_sel:DWORD src1_sel:WORD_1
	v_fmac_f16_e32 v75, v71, v76
	v_fma_f16 v71, v100, v76, -v96
	v_fma_f16 v76, v94, v77, -v99
	ds_read_b32 v100, v93
	ds_read_b32 v102, v47
	ds_read_b32 v103, v81
	ds_read_b32 v104, v83
	ds_read_b32 v105, v39
	ds_read_b32 v106, v43
	ds_read_b32 v107, v25 offset:11136
	ds_read_b32 v108, v25
	v_fmac_f16_e32 v37, v54, v77
	s_waitcnt lgkmcnt(9)
	v_lshrrev_b32_e32 v54, 16, v56
	s_waitcnt vmcnt(5)
	v_mul_f16_sdwa v77, v55, v79 dst_sel:DWORD dst_unused:UNUSED_PAD src0_sel:DWORD src1_sel:WORD_1
	v_mul_f16_sdwa v94, v101, v79 dst_sel:DWORD dst_unused:UNUSED_PAD src0_sel:DWORD src1_sel:WORD_1
	v_lshrrev_b32_e32 v96, 16, v57
	s_waitcnt vmcnt(4)
	v_mul_f16_sdwa v99, v54, v82 dst_sel:DWORD dst_unused:UNUSED_PAD src0_sel:DWORD src1_sel:WORD_1
	v_fma_f16 v77, v101, v79, -v77
	ds_read_b32 v101, v97
	v_fmac_f16_e32 v94, v55, v79
	v_mul_f16_sdwa v55, v56, v82 dst_sel:DWORD dst_unused:UNUSED_PAD src0_sel:DWORD src1_sel:WORD_1
	s_waitcnt vmcnt(3)
	v_mul_f16_sdwa v79, v96, v86 dst_sel:DWORD dst_unused:UNUSED_PAD src0_sel:DWORD src1_sel:WORD_1
	v_fmac_f16_e32 v99, v56, v82
	s_waitcnt lgkmcnt(9)
	v_lshrrev_b32_e32 v56, 16, v59
	s_waitcnt lgkmcnt(8)
	v_sub_f16_e32 v27, v100, v27
	v_fma_f16 v54, v54, v82, -v55
	v_lshrrev_b32_e32 v55, 16, v58
	v_fmac_f16_e32 v79, v57, v86
	v_mul_f16_sdwa v57, v57, v86 dst_sel:DWORD dst_unused:UNUSED_PAD src0_sel:DWORD src1_sel:WORD_1
	s_waitcnt vmcnt(2)
	v_mul_f16_sdwa v82, v58, v87 dst_sel:DWORD dst_unused:UNUSED_PAD src0_sel:DWORD src1_sel:WORD_1
	s_waitcnt vmcnt(1)
	v_mul_f16_sdwa v110, v56, v89 dst_sel:DWORD dst_unused:UNUSED_PAD src0_sel:DWORD src1_sel:WORD_1
	v_mul_f16_sdwa v109, v55, v87 dst_sel:DWORD dst_unused:UNUSED_PAD src0_sel:DWORD src1_sel:WORD_1
	v_fma_f16 v57, v96, v86, -v57
	v_mul_f16_sdwa v111, v59, v89 dst_sel:DWORD dst_unused:UNUSED_PAD src0_sel:DWORD src1_sel:WORD_1
	v_fma_f16 v55, v55, v87, -v82
	ds_read_b32 v82, v85
	ds_read_b32 v86, v23
	v_fmac_f16_e32 v110, v59, v89
	s_waitcnt lgkmcnt(3)
	v_lshrrev_b32_e32 v59, 16, v108
	v_fmac_f16_e32 v109, v58, v87
	v_fma_f16 v56, v56, v89, -v111
	v_lshrrev_b32_e32 v58, 16, v107
	s_waitcnt lgkmcnt(2)
	v_lshrrev_b32_e32 v87, 16, v101
	v_sub_f16_e32 v89, v108, v92
	v_sub_f16_e32 v29, v59, v29
	;; [unrolled: 1-line block ×3, first 2 shown]
	s_waitcnt vmcnt(0)
	v_mul_f16_sdwa v92, v58, v90 dst_sel:DWORD dst_unused:UNUSED_PAD src0_sel:DWORD src1_sel:WORD_1
	v_sub_f16_e32 v35, v87, v35
	v_fma_f16 v108, v108, 2.0, -v89
	v_fma_f16 v59, v59, 2.0, -v29
	v_mul_f16_sdwa v96, v107, v90 dst_sel:DWORD dst_unused:UNUSED_PAD src0_sel:DWORD src1_sel:WORD_1
	v_fma_f16 v101, v101, 2.0, -v41
	v_fma_f16 v87, v87, 2.0, -v35
	v_fmac_f16_e32 v92, v107, v90
	v_pack_b32_f16 v59, v108, v59
	s_waitcnt lgkmcnt(1)
	v_lshrrev_b32_e32 v107, 16, v82
	v_fma_f16 v58, v58, v90, -v96
	v_pack_b32_f16 v29, v89, v29
	v_pack_b32_f16 v87, v101, v87
	;; [unrolled: 1-line block ×3, first 2 shown]
	ds_read_b32 v41, v88
	ds_read_b32 v89, v84
	;; [unrolled: 1-line block ×5, first 2 shown]
	s_waitcnt lgkmcnt(0)
	s_barrier
	buffer_gl0_inv
	v_sub_f16_e32 v98, v82, v98
	ds_write_b32 v25, v59
	v_sub_f16_e32 v45, v107, v45
	v_lshrrev_b32_e32 v59, 16, v104
	ds_write_b32 v25, v29 offset:5760
	ds_write_b32 v97, v87
	v_fma_f16 v29, v82, 2.0, -v98
	ds_write_b32 v97, v35 offset:5760
	v_fma_f16 v82, v107, 2.0, -v45
	v_lshrrev_b32_e32 v35, 16, v103
	v_sub_f16_e32 v87, v104, v91
	v_sub_f16_e32 v72, v59, v72
	v_pack_b32_f16 v45, v98, v45
	v_pack_b32_f16 v29, v29, v82
	v_sub_f16_e32 v82, v103, v95
	v_sub_f16_e32 v78, v35, v78
	v_fma_f16 v91, v104, 2.0, -v87
	v_fma_f16 v59, v59, 2.0, -v72
	ds_write_b32 v85, v29
	v_fma_f16 v95, v103, 2.0, -v82
	v_fma_f16 v35, v35, 2.0, -v78
	ds_write_b32 v85, v45 offset:5760
	v_pack_b32_f16 v29, v91, v59
	v_pack_b32_f16 v59, v87, v72
	;; [unrolled: 1-line block ×4, first 2 shown]
	ds_write_b32 v83, v29
	ds_write_b32 v83, v59 offset:5760
	v_lshrrev_b32_e32 v29, 16, v106
	ds_write_b32 v81, v45 offset:5760
	v_lshrrev_b32_e32 v45, 16, v100
	ds_write_b32 v81, v35
	v_sub_f16_e32 v35, v106, v73
	v_sub_f16_e32 v59, v29, v74
	v_lshrrev_b32_e32 v72, 16, v102
	v_sub_f16_e32 v70, v45, v70
	v_sub_f16_e32 v74, v102, v75
	v_fma_f16 v73, v106, 2.0, -v35
	v_fma_f16 v29, v29, 2.0, -v59
	;; [unrolled: 1-line block ×4, first 2 shown]
	v_sub_f16_e32 v71, v72, v71
	v_pack_b32_f16 v35, v35, v59
	v_pack_b32_f16 v29, v73, v29
	v_fma_f16 v78, v102, 2.0, -v74
	v_pack_b32_f16 v45, v75, v45
	v_fma_f16 v72, v72, 2.0, -v71
	v_pack_b32_f16 v27, v27, v70
	ds_write_b32 v43, v29
	ds_write_b32 v43, v35 offset:5760
	ds_write_b32 v93, v45
	v_lshrrev_b32_e32 v29, 16, v41
	v_lshrrev_b32_e32 v35, 16, v89
	v_pack_b32_f16 v59, v78, v72
	ds_write_b32 v93, v27 offset:5760
	v_sub_f16_e32 v27, v41, v37
	v_sub_f16_e32 v37, v29, v76
	v_pack_b32_f16 v45, v74, v71
	ds_write_b32 v47, v59
	v_sub_f16_e32 v59, v89, v94
	v_sub_f16_e32 v70, v35, v77
	v_fma_f16 v41, v41, 2.0, -v27
	v_fma_f16 v29, v29, 2.0, -v37
	ds_write_b32 v47, v45 offset:5760
	v_lshrrev_b32_e32 v45, 16, v105
	v_fma_f16 v71, v89, 2.0, -v59
	v_fma_f16 v35, v35, 2.0, -v70
	v_pack_b32_f16 v29, v41, v29
	v_lshrrev_b32_e32 v41, 16, v90
	v_pack_b32_f16 v27, v27, v37
	v_lshrrev_b32_e32 v37, 16, v96
	v_sub_f16_e32 v72, v105, v99
	v_sub_f16_e32 v54, v45, v54
	v_pack_b32_f16 v35, v71, v35
	v_lshrrev_b32_e32 v71, 16, v101
	v_sub_f16_e32 v73, v90, v79
	v_sub_f16_e32 v57, v41, v57
	;; [unrolled: 4-line block ×3, first 2 shown]
	v_fma_f16 v74, v105, 2.0, -v72
	v_fma_f16 v45, v45, 2.0, -v54
	v_sub_f16_e32 v78, v101, v110
	v_sub_f16_e32 v56, v71, v56
	v_fma_f16 v76, v90, 2.0, -v73
	v_fma_f16 v41, v41, 2.0, -v57
	v_sub_f16_e32 v79, v86, v92
	v_sub_f16_e32 v58, v70, v58
	v_fma_f16 v77, v96, 2.0, -v75
	v_fma_f16 v37, v37, 2.0, -v55
	ds_write_b32 v88, v29
	ds_write_b32 v88, v27 offset:5760
	ds_write_b32 v84, v35
	ds_write_b32 v84, v59 offset:5760
	v_pack_b32_f16 v27, v74, v45
	v_fma_f16 v82, v101, 2.0, -v78
	v_fma_f16 v71, v71, 2.0, -v56
	v_pack_b32_f16 v29, v72, v54
	v_pack_b32_f16 v35, v76, v41
	v_fma_f16 v85, v86, 2.0, -v79
	v_fma_f16 v70, v70, 2.0, -v58
	v_pack_b32_f16 v41, v73, v57
	v_pack_b32_f16 v37, v77, v37
	ds_write_b32 v39, v27
	ds_write_b32 v39, v29 offset:5760
	ds_write_b32 v80, v35
	ds_write_b32 v80, v41 offset:5760
	ds_write_b32 v53, v37
	v_pack_b32_f16 v27, v75, v55
	v_pack_b32_f16 v29, v82, v71
	;; [unrolled: 1-line block ×5, first 2 shown]
	ds_write_b32 v53, v27 offset:5760
	ds_write_b32 v51, v29
	ds_write_b32 v51, v35 offset:5760
	ds_write_b32 v23, v37
	ds_write_b32 v23, v41 offset:5760
	s_waitcnt lgkmcnt(0)
	s_barrier
	buffer_gl0_inv
	ds_read_b32 v45, v25
                                        ; implicit-def: $vgpr37
                                        ; implicit-def: $vgpr35
                                        ; implicit-def: $vgpr29
	v_cmpx_ne_u32_e32 0, v22
	s_xor_b32 s5, exec_lo, s5
	s_cbranch_execz .LBB0_15
; %bb.14:
	v_add_co_u32 v54, s0, s1, v0
	v_add_co_ci_u32_e64 v55, s0, s4, v1, s0
	ds_read_b32 v29, v21 offset:11520
	global_load_dword v27, v[54:55], off
	s_waitcnt lgkmcnt(0)
	v_sub_f16_e32 v35, v45, v29
	v_add_f16_sdwa v37, v29, v45 dst_sel:DWORD dst_unused:UNUSED_PAD src0_sel:WORD_1 src1_sel:WORD_1
	v_sub_f16_sdwa v41, v45, v29 dst_sel:DWORD dst_unused:UNUSED_PAD src0_sel:WORD_1 src1_sel:WORD_1
	v_add_f16_e32 v29, v29, v45
	v_mul_f16_e32 v54, 0.5, v35
	v_mul_f16_e32 v37, 0.5, v37
	;; [unrolled: 1-line block ×3, first 2 shown]
	s_waitcnt vmcnt(0)
	v_lshrrev_b32_e32 v35, 16, v27
	v_mul_f16_e32 v45, v35, v54
	v_fma_f16 v55, v37, v35, v41
	v_fma_f16 v41, v37, v35, -v41
	v_fma_f16 v56, 0.5, v29, v45
	v_fma_f16 v45, v29, 0.5, -v45
	v_fma_f16 v29, -v27, v54, v55
	v_fmac_f16_e32 v56, v27, v37
	v_fma_f16 v35, -v27, v37, v45
	v_fma_f16 v37, -v27, v54, v41
                                        ; implicit-def: $vgpr45
	ds_write_b16 v25, v56
.LBB0_15:
	s_or_saveexec_b32 s0, s5
	v_mul_i32_i24_e32 v41, 0xffffffdc, v50
	v_mul_i32_i24_e32 v27, 0xffffffdc, v52
	s_xor_b32 exec_lo, exec_lo, s0
	s_cbranch_execz .LBB0_17
; %bb.16:
	v_mov_b32_e32 v29, 0
	s_waitcnt lgkmcnt(0)
	v_add_f16_sdwa v50, v45, v45 dst_sel:DWORD dst_unused:UNUSED_PAD src0_sel:WORD_1 src1_sel:DWORD
	v_sub_f16_sdwa v35, v45, v45 dst_sel:DWORD dst_unused:UNUSED_PAD src0_sel:DWORD src1_sel:WORD_1
	ds_read_u16 v37, v29 offset:5762
	s_waitcnt lgkmcnt(0)
	v_xor_b32_e32 v45, 0x8000, v37
	v_mov_b32_e32 v37, 0
	ds_write_b16 v25, v50
	ds_write_b16 v29, v45 offset:5762
.LBB0_17:
	s_or_b32 exec_lo, exec_lo, s0
	v_add_co_u32 v2, s0, s1, v2
	v_add_co_ci_u32_e64 v3, s0, s4, v3, s0
	ds_write_b16 v25, v29 offset:2
	s_waitcnt lgkmcnt(1)
	global_load_dword v45, v[2:3], off
	v_add_co_u32 v2, s0, s1, v4
	v_add_co_ci_u32_e64 v3, s0, s4, v5, s0
	v_add_nc_u32_e32 v5, v31, v41
	global_load_dword v4, v[2:3], off
	v_add_co_u32 v2, s0, s1, v8
	v_add_co_ci_u32_e64 v3, s0, s4, v9, s0
	ds_read_b32 v9, v21 offset:11136
	global_load_dword v8, v[2:3], off
	v_add_co_u32 v2, s0, s1, v6
	v_add_co_ci_u32_e64 v3, s0, s4, v7, s0
	global_load_dword v6, v[2:3], off
	v_add_co_u32 v2, s0, s1, v12
	v_add_co_ci_u32_e64 v3, s0, s4, v13, s0
	global_load_dword v7, v[2:3], off
	v_perm_b32 v2, v37, v35, 0x5040100
	ds_write_b32 v21, v2 offset:11520
	ds_read_b32 v12, v5
	v_add_co_u32 v2, s0, s1, v10
	v_add_co_ci_u32_e64 v3, s0, s4, v11, s0
	global_load_dword v10, v[2:3], off
	s_waitcnt lgkmcnt(0)
	v_pk_add_f16 v2, v12, v9 neg_lo:[0,1] neg_hi:[0,1]
	v_pk_add_f16 v3, v12, v9
	v_bfi_b32 v9, 0xffff, v2, v3
	v_bfi_b32 v2, 0xffff, v3, v2
	v_pk_mul_f16 v3, v9, 0.5 op_sel_hi:[1,0]
	v_pk_mul_f16 v2, v2, 0.5 op_sel_hi:[1,0]
	s_waitcnt vmcnt(5)
	v_pk_fma_f16 v9, v45, v3, v2 op_sel:[1,0,0]
	v_pk_mul_f16 v11, v45, v3 op_sel_hi:[0,1]
	v_pk_fma_f16 v12, v45, v3, v2 op_sel:[1,0,0] neg_lo:[1,0,0] neg_hi:[1,0,0]
	v_pk_fma_f16 v2, v45, v3, v2 op_sel:[1,0,0] neg_lo:[0,0,1] neg_hi:[0,0,1]
	v_pk_add_f16 v3, v9, v11 op_sel:[0,1] op_sel_hi:[1,0]
	v_pk_add_f16 v9, v9, v11 op_sel:[0,1] op_sel_hi:[1,0] neg_lo:[0,1] neg_hi:[0,1]
	v_pk_add_f16 v12, v12, v11 op_sel:[0,1] op_sel_hi:[1,0] neg_lo:[0,1] neg_hi:[0,1]
	;; [unrolled: 1-line block ×3, first 2 shown]
	v_bfi_b32 v3, 0xffff, v3, v9
	v_add_nc_u32_e32 v9, v33, v27
	v_bfi_b32 v2, 0xffff, v12, v2
	ds_write_b32 v5, v3
	ds_write_b32 v21, v2 offset:11136
	v_add_co_u32 v2, s0, s1, v68
	ds_read_b32 v5, v9
	ds_read_b32 v11, v21 offset:10752
	v_add_co_ci_u32_e64 v3, s0, s4, v69, s0
	global_load_dword v12, v[2:3], off
	s_waitcnt lgkmcnt(0)
	v_pk_add_f16 v2, v5, v11 neg_lo:[0,1] neg_hi:[0,1]
	v_pk_add_f16 v3, v5, v11
	v_bfi_b32 v5, 0xffff, v2, v3
	v_bfi_b32 v2, 0xffff, v3, v2
	v_pk_mul_f16 v3, v5, 0.5 op_sel_hi:[1,0]
	v_pk_mul_f16 v2, v2, 0.5 op_sel_hi:[1,0]
	s_waitcnt vmcnt(5)
	v_pk_mul_f16 v11, v4, v3 op_sel_hi:[0,1]
	v_pk_fma_f16 v5, v4, v3, v2 op_sel:[1,0,0]
	v_pk_fma_f16 v13, v4, v3, v2 op_sel:[1,0,0] neg_lo:[1,0,0] neg_hi:[1,0,0]
	v_pk_fma_f16 v2, v4, v3, v2 op_sel:[1,0,0] neg_lo:[0,0,1] neg_hi:[0,0,1]
	v_pk_add_f16 v3, v5, v11 op_sel:[0,1] op_sel_hi:[1,0]
	v_pk_add_f16 v4, v5, v11 op_sel:[0,1] op_sel_hi:[1,0] neg_lo:[0,1] neg_hi:[0,1]
	v_pk_add_f16 v5, v13, v11 op_sel:[0,1] op_sel_hi:[1,0] neg_lo:[0,1] neg_hi:[0,1]
	;; [unrolled: 1-line block ×3, first 2 shown]
	v_bfi_b32 v3, 0xffff, v3, v4
	v_bfi_b32 v2, 0xffff, v5, v2
	ds_write_b32 v9, v3
	ds_write_b32 v21, v2 offset:10752
	v_add_co_u32 v2, s0, s1, v66
	v_add_co_ci_u32_e64 v3, s0, s4, v67, s0
	ds_read_b32 v4, v83
	ds_read_b32 v5, v21 offset:10368
	global_load_dword v9, v[2:3], off
	v_add_co_u32 v2, s0, s1, v64
	v_add_co_ci_u32_e64 v3, s0, s4, v65, s0
	s_waitcnt lgkmcnt(0)
	v_pk_add_f16 v11, v4, v5 neg_lo:[0,1] neg_hi:[0,1]
	v_pk_add_f16 v4, v4, v5
	v_bfi_b32 v13, 0xffff, v11, v4
	v_bfi_b32 v11, 0xffff, v4, v11
	v_add_co_u32 v4, s0, s1, v62
	v_add_co_ci_u32_e64 v5, s0, s4, v63, s0
	v_pk_mul_f16 v13, v13, 0.5 op_sel_hi:[1,0]
	v_pk_mul_f16 v11, v11, 0.5 op_sel_hi:[1,0]
	s_clause 0x1
	global_load_dword v27, v[2:3], off
	global_load_dword v4, v[4:5], off
	s_waitcnt vmcnt(7)
	v_pk_mul_f16 v3, v8, v13 op_sel_hi:[0,1]
	v_pk_fma_f16 v2, v8, v13, v11 op_sel:[1,0,0]
	v_pk_fma_f16 v5, v8, v13, v11 op_sel:[1,0,0] neg_lo:[1,0,0] neg_hi:[1,0,0]
	v_pk_fma_f16 v8, v8, v13, v11 op_sel:[1,0,0] neg_lo:[0,0,1] neg_hi:[0,0,1]
	v_pk_add_f16 v11, v2, v3 op_sel:[0,1] op_sel_hi:[1,0]
	v_pk_add_f16 v2, v2, v3 op_sel:[0,1] op_sel_hi:[1,0] neg_lo:[0,1] neg_hi:[0,1]
	v_pk_add_f16 v5, v5, v3 op_sel:[0,1] op_sel_hi:[1,0] neg_lo:[0,1] neg_hi:[0,1]
	;; [unrolled: 1-line block ×3, first 2 shown]
	v_bfi_b32 v2, 0xffff, v11, v2
	v_bfi_b32 v3, 0xffff, v5, v3
	ds_write_b32 v83, v2
	ds_write_b32 v21, v3 offset:10368
	ds_read_b32 v2, v81
	ds_read_b32 v3, v21 offset:9984
	s_waitcnt lgkmcnt(0)
	v_pk_add_f16 v5, v2, v3 neg_lo:[0,1] neg_hi:[0,1]
	v_pk_add_f16 v2, v2, v3
	v_bfi_b32 v3, 0xffff, v5, v2
	v_bfi_b32 v2, 0xffff, v2, v5
	v_pk_mul_f16 v3, v3, 0.5 op_sel_hi:[1,0]
	v_pk_mul_f16 v2, v2, 0.5 op_sel_hi:[1,0]
	s_waitcnt vmcnt(6)
	v_pk_mul_f16 v8, v6, v3 op_sel_hi:[0,1]
	v_pk_fma_f16 v5, v6, v3, v2 op_sel:[1,0,0]
	v_pk_fma_f16 v11, v6, v3, v2 op_sel:[1,0,0] neg_lo:[1,0,0] neg_hi:[1,0,0]
	v_pk_fma_f16 v2, v6, v3, v2 op_sel:[1,0,0] neg_lo:[0,0,1] neg_hi:[0,0,1]
	v_pk_add_f16 v3, v5, v8 op_sel:[0,1] op_sel_hi:[1,0]
	v_pk_add_f16 v5, v5, v8 op_sel:[0,1] op_sel_hi:[1,0] neg_lo:[0,1] neg_hi:[0,1]
	v_pk_add_f16 v6, v11, v8 op_sel:[0,1] op_sel_hi:[1,0] neg_lo:[0,1] neg_hi:[0,1]
	;; [unrolled: 1-line block ×3, first 2 shown]
	v_bfi_b32 v3, 0xffff, v3, v5
	v_bfi_b32 v2, 0xffff, v6, v2
	ds_write_b32 v81, v3
	ds_write_b32 v21, v2 offset:9984
	ds_read_b32 v2, v43
	ds_read_b32 v3, v21 offset:9600
	s_waitcnt lgkmcnt(0)
	v_pk_add_f16 v5, v2, v3 neg_lo:[0,1] neg_hi:[0,1]
	v_pk_add_f16 v2, v2, v3
	v_bfi_b32 v3, 0xffff, v5, v2
	v_bfi_b32 v2, 0xffff, v2, v5
	v_pk_mul_f16 v3, v3, 0.5 op_sel_hi:[1,0]
	v_pk_mul_f16 v2, v2, 0.5 op_sel_hi:[1,0]
	s_waitcnt vmcnt(5)
	v_pk_mul_f16 v6, v7, v3 op_sel_hi:[0,1]
	v_pk_fma_f16 v5, v7, v3, v2 op_sel:[1,0,0]
	v_pk_fma_f16 v8, v7, v3, v2 op_sel:[1,0,0] neg_lo:[1,0,0] neg_hi:[1,0,0]
	v_pk_fma_f16 v2, v7, v3, v2 op_sel:[1,0,0] neg_lo:[0,0,1] neg_hi:[0,0,1]
	v_pk_add_f16 v3, v5, v6 op_sel:[0,1] op_sel_hi:[1,0]
	v_pk_add_f16 v5, v5, v6 op_sel:[0,1] op_sel_hi:[1,0] neg_lo:[0,1] neg_hi:[0,1]
	v_pk_add_f16 v7, v8, v6 op_sel:[0,1] op_sel_hi:[1,0] neg_lo:[0,1] neg_hi:[0,1]
	;; [unrolled: 1-line block ×3, first 2 shown]
	v_bfi_b32 v3, 0xffff, v3, v5
	v_bfi_b32 v2, 0xffff, v7, v2
	ds_write_b32 v43, v3
	ds_write_b32 v21, v2 offset:9600
	v_add_co_u32 v2, s0, s1, v60
	ds_read_b32 v5, v93
	ds_read_b32 v6, v21 offset:9216
	v_add_co_ci_u32_e64 v3, s0, s4, v61, s0
	global_load_dword v7, v[2:3], off
	s_waitcnt lgkmcnt(0)
	v_pk_add_f16 v2, v5, v6 neg_lo:[0,1] neg_hi:[0,1]
	v_pk_add_f16 v3, v5, v6
	v_bfi_b32 v5, 0xffff, v2, v3
	v_bfi_b32 v2, 0xffff, v3, v2
	v_pk_mul_f16 v3, v5, 0.5 op_sel_hi:[1,0]
	v_pk_mul_f16 v2, v2, 0.5 op_sel_hi:[1,0]
	s_waitcnt vmcnt(5)
	v_pk_mul_f16 v6, v10, v3 op_sel_hi:[0,1]
	v_pk_fma_f16 v5, v10, v3, v2 op_sel:[1,0,0]
	v_pk_fma_f16 v8, v10, v3, v2 op_sel:[1,0,0] neg_lo:[1,0,0] neg_hi:[1,0,0]
	v_pk_fma_f16 v2, v10, v3, v2 op_sel:[1,0,0] neg_lo:[0,0,1] neg_hi:[0,0,1]
	v_pk_add_f16 v3, v5, v6 op_sel:[0,1] op_sel_hi:[1,0]
	v_pk_add_f16 v5, v5, v6 op_sel:[0,1] op_sel_hi:[1,0] neg_lo:[0,1] neg_hi:[0,1]
	v_pk_add_f16 v8, v8, v6 op_sel:[0,1] op_sel_hi:[1,0] neg_lo:[0,1] neg_hi:[0,1]
	;; [unrolled: 1-line block ×3, first 2 shown]
	v_bfi_b32 v3, 0xffff, v3, v5
	v_bfi_b32 v2, 0xffff, v8, v2
	ds_write_b32 v93, v3
	ds_write_b32 v21, v2 offset:9216
	v_add_co_u32 v2, s0, s1, v18
	ds_read_b32 v5, v47
	ds_read_b32 v6, v21 offset:8832
	v_add_co_ci_u32_e64 v3, s0, s4, v19, s0
	global_load_dword v8, v[2:3], off
	s_waitcnt lgkmcnt(0)
	v_pk_add_f16 v2, v5, v6 neg_lo:[0,1] neg_hi:[0,1]
	v_pk_add_f16 v3, v5, v6
	v_bfi_b32 v5, 0xffff, v2, v3
	v_bfi_b32 v2, 0xffff, v3, v2
	v_pk_mul_f16 v3, v5, 0.5 op_sel_hi:[1,0]
	v_pk_mul_f16 v2, v2, 0.5 op_sel_hi:[1,0]
	s_waitcnt vmcnt(5)
	v_pk_fma_f16 v5, v12, v3, v2 op_sel:[1,0,0]
	v_pk_mul_f16 v6, v12, v3 op_sel_hi:[0,1]
	v_pk_fma_f16 v10, v12, v3, v2 op_sel:[1,0,0] neg_lo:[1,0,0] neg_hi:[1,0,0]
	v_pk_fma_f16 v2, v12, v3, v2 op_sel:[1,0,0] neg_lo:[0,0,1] neg_hi:[0,0,1]
	v_pk_add_f16 v3, v5, v6 op_sel:[0,1] op_sel_hi:[1,0]
	v_pk_add_f16 v5, v5, v6 op_sel:[0,1] op_sel_hi:[1,0] neg_lo:[0,1] neg_hi:[0,1]
	v_pk_add_f16 v10, v10, v6 op_sel:[0,1] op_sel_hi:[1,0] neg_lo:[0,1] neg_hi:[0,1]
	;; [unrolled: 1-line block ×3, first 2 shown]
	v_bfi_b32 v3, 0xffff, v3, v5
	v_bfi_b32 v2, 0xffff, v10, v2
	ds_write_b32 v47, v3
	ds_write_b32 v21, v2 offset:8832
	v_add_co_u32 v2, s0, s1, v16
	ds_read_b32 v5, v88
	ds_read_b32 v6, v21 offset:8448
	v_add_co_ci_u32_e64 v3, s0, s4, v17, s0
	global_load_dword v10, v[2:3], off
	s_waitcnt lgkmcnt(0)
	v_pk_add_f16 v2, v5, v6 neg_lo:[0,1] neg_hi:[0,1]
	v_pk_add_f16 v3, v5, v6
	v_bfi_b32 v5, 0xffff, v2, v3
	v_bfi_b32 v2, 0xffff, v3, v2
	v_pk_mul_f16 v3, v5, 0.5 op_sel_hi:[1,0]
	v_pk_mul_f16 v2, v2, 0.5 op_sel_hi:[1,0]
	s_waitcnt vmcnt(5)
	v_pk_mul_f16 v6, v9, v3 op_sel_hi:[0,1]
	v_pk_fma_f16 v5, v9, v3, v2 op_sel:[1,0,0]
	v_pk_fma_f16 v11, v9, v3, v2 op_sel:[1,0,0] neg_lo:[1,0,0] neg_hi:[1,0,0]
	v_pk_fma_f16 v2, v9, v3, v2 op_sel:[1,0,0] neg_lo:[0,0,1] neg_hi:[0,0,1]
	v_pk_add_f16 v3, v5, v6 op_sel:[0,1] op_sel_hi:[1,0]
	v_pk_add_f16 v5, v5, v6 op_sel:[0,1] op_sel_hi:[1,0] neg_lo:[0,1] neg_hi:[0,1]
	v_pk_add_f16 v9, v11, v6 op_sel:[0,1] op_sel_hi:[1,0] neg_lo:[0,1] neg_hi:[0,1]
	v_pk_add_f16 v2, v2, v6 op_sel:[0,1] op_sel_hi:[1,0] neg_lo:[0,1] neg_hi:[0,1]
	v_bfi_b32 v3, 0xffff, v3, v5
	v_bfi_b32 v2, 0xffff, v9, v2
	ds_write_b32 v88, v3
	ds_write_b32 v21, v2 offset:8448
	v_add_co_u32 v2, s0, s1, v14
	v_add_co_ci_u32_e64 v3, s0, s4, v15, s0
	ds_read_b32 v5, v84
	ds_read_b32 v6, v21 offset:8064
	global_load_dword v2, v[2:3], off
	s_waitcnt lgkmcnt(0)
	v_pk_add_f16 v3, v5, v6 neg_lo:[0,1] neg_hi:[0,1]
	v_pk_add_f16 v5, v5, v6
	v_bfi_b32 v6, 0xffff, v3, v5
	v_bfi_b32 v3, 0xffff, v5, v3
	v_pk_mul_f16 v5, v6, 0.5 op_sel_hi:[1,0]
	v_pk_mul_f16 v3, v3, 0.5 op_sel_hi:[1,0]
	s_waitcnt vmcnt(5)
	v_pk_mul_f16 v9, v27, v5 op_sel_hi:[0,1]
	v_pk_fma_f16 v6, v27, v5, v3 op_sel:[1,0,0]
	v_pk_fma_f16 v11, v27, v5, v3 op_sel:[1,0,0] neg_lo:[1,0,0] neg_hi:[1,0,0]
	v_pk_fma_f16 v3, v27, v5, v3 op_sel:[1,0,0] neg_lo:[0,0,1] neg_hi:[0,0,1]
	v_pk_add_f16 v5, v6, v9 op_sel:[0,1] op_sel_hi:[1,0]
	v_pk_add_f16 v6, v6, v9 op_sel:[0,1] op_sel_hi:[1,0] neg_lo:[0,1] neg_hi:[0,1]
	v_pk_add_f16 v11, v11, v9 op_sel:[0,1] op_sel_hi:[1,0] neg_lo:[0,1] neg_hi:[0,1]
	;; [unrolled: 1-line block ×3, first 2 shown]
	v_bfi_b32 v5, 0xffff, v5, v6
	v_bfi_b32 v3, 0xffff, v11, v3
	ds_write_b32 v84, v5
	ds_write_b32 v21, v3 offset:8064
	ds_read_b32 v3, v39
	ds_read_b32 v5, v21 offset:7680
	s_waitcnt lgkmcnt(0)
	v_pk_add_f16 v6, v3, v5 neg_lo:[0,1] neg_hi:[0,1]
	v_pk_add_f16 v3, v3, v5
	v_bfi_b32 v5, 0xffff, v6, v3
	v_bfi_b32 v3, 0xffff, v3, v6
	v_pk_mul_f16 v5, v5, 0.5 op_sel_hi:[1,0]
	v_pk_mul_f16 v3, v3, 0.5 op_sel_hi:[1,0]
	s_waitcnt vmcnt(4)
	v_pk_mul_f16 v9, v4, v5 op_sel_hi:[0,1]
	v_pk_fma_f16 v6, v4, v5, v3 op_sel:[1,0,0]
	v_pk_fma_f16 v11, v4, v5, v3 op_sel:[1,0,0] neg_lo:[1,0,0] neg_hi:[1,0,0]
	v_pk_fma_f16 v3, v4, v5, v3 op_sel:[1,0,0] neg_lo:[0,0,1] neg_hi:[0,0,1]
	v_pk_add_f16 v4, v6, v9 op_sel:[0,1] op_sel_hi:[1,0]
	v_pk_add_f16 v5, v6, v9 op_sel:[0,1] op_sel_hi:[1,0] neg_lo:[0,1] neg_hi:[0,1]
	v_pk_add_f16 v6, v11, v9 op_sel:[0,1] op_sel_hi:[1,0] neg_lo:[0,1] neg_hi:[0,1]
	v_pk_add_f16 v3, v3, v9 op_sel:[0,1] op_sel_hi:[1,0] neg_lo:[0,1] neg_hi:[0,1]
	v_bfi_b32 v4, 0xffff, v4, v5
	v_bfi_b32 v3, 0xffff, v6, v3
	ds_write_b32 v39, v4
	ds_write_b32 v21, v3 offset:7680
	ds_read_b32 v3, v80
	ds_read_b32 v4, v21 offset:7296
	s_waitcnt lgkmcnt(0)
	v_pk_add_f16 v5, v3, v4 neg_lo:[0,1] neg_hi:[0,1]
	v_pk_add_f16 v3, v3, v4
	v_bfi_b32 v4, 0xffff, v5, v3
	v_bfi_b32 v3, 0xffff, v3, v5
	v_pk_mul_f16 v4, v4, 0.5 op_sel_hi:[1,0]
	v_pk_mul_f16 v3, v3, 0.5 op_sel_hi:[1,0]
	s_waitcnt vmcnt(3)
	v_pk_fma_f16 v5, v7, v4, v3 op_sel:[1,0,0]
	v_pk_mul_f16 v6, v7, v4 op_sel_hi:[0,1]
	v_pk_fma_f16 v9, v7, v4, v3 op_sel:[1,0,0] neg_lo:[1,0,0] neg_hi:[1,0,0]
	v_pk_fma_f16 v3, v7, v4, v3 op_sel:[1,0,0] neg_lo:[0,0,1] neg_hi:[0,0,1]
	v_pk_add_f16 v4, v5, v6 op_sel:[0,1] op_sel_hi:[1,0]
	v_pk_add_f16 v5, v5, v6 op_sel:[0,1] op_sel_hi:[1,0] neg_lo:[0,1] neg_hi:[0,1]
	v_pk_add_f16 v7, v9, v6 op_sel:[0,1] op_sel_hi:[1,0] neg_lo:[0,1] neg_hi:[0,1]
	v_pk_add_f16 v3, v3, v6 op_sel:[0,1] op_sel_hi:[1,0] neg_lo:[0,1] neg_hi:[0,1]
	v_bfi_b32 v4, 0xffff, v4, v5
	v_bfi_b32 v3, 0xffff, v7, v3
	ds_write_b32 v80, v4
	ds_write_b32 v21, v3 offset:7296
	ds_read_b32 v3, v53
	ds_read_b32 v4, v21 offset:6912
	s_waitcnt lgkmcnt(0)
	v_pk_add_f16 v5, v3, v4 neg_lo:[0,1] neg_hi:[0,1]
	v_pk_add_f16 v3, v3, v4
	v_bfi_b32 v4, 0xffff, v5, v3
	v_bfi_b32 v3, 0xffff, v3, v5
	v_pk_mul_f16 v4, v4, 0.5 op_sel_hi:[1,0]
	v_pk_mul_f16 v3, v3, 0.5 op_sel_hi:[1,0]
	s_waitcnt vmcnt(2)
	v_pk_fma_f16 v5, v8, v4, v3 op_sel:[1,0,0]
	v_pk_mul_f16 v6, v8, v4 op_sel_hi:[0,1]
	;; [unrolled: 22-line block ×4, first 2 shown]
	v_pk_fma_f16 v7, v2, v4, v3 op_sel:[1,0,0] neg_lo:[1,0,0] neg_hi:[1,0,0]
	v_pk_fma_f16 v2, v2, v4, v3 op_sel:[1,0,0] neg_lo:[0,0,1] neg_hi:[0,0,1]
	v_pk_add_f16 v3, v5, v6 op_sel:[0,1] op_sel_hi:[1,0]
	v_pk_add_f16 v4, v5, v6 op_sel:[0,1] op_sel_hi:[1,0] neg_lo:[0,1] neg_hi:[0,1]
	v_pk_add_f16 v5, v7, v6 op_sel:[0,1] op_sel_hi:[1,0] neg_lo:[0,1] neg_hi:[0,1]
	;; [unrolled: 1-line block ×3, first 2 shown]
	v_bfi_b32 v3, 0xffff, v3, v4
	v_bfi_b32 v2, 0xffff, v5, v2
	ds_write_b32 v23, v3
	ds_write_b32 v21, v2 offset:6144
	s_waitcnt lgkmcnt(0)
	s_barrier
	buffer_gl0_inv
	s_and_saveexec_b32 s0, vcc_lo
	s_cbranch_execz .LBB0_20
; %bb.18:
	v_add_nc_u32_e32 v2, 0x200, v25
	v_add_nc_u32_e32 v3, 0x400, v25
	;; [unrolled: 1-line block ×3, first 2 shown]
	v_mov_b32_e32 v21, 0
	ds_read2_b32 v[4:5], v25 offset1:96
	ds_read2_b32 v[6:7], v2 offset0:64 offset1:160
	v_add_co_u32 v2, vcc_lo, s2, v48
	ds_read2_b32 v[8:9], v3 offset0:128 offset1:224
	v_add_co_ci_u32_e32 v3, vcc_lo, s3, v49, vcc_lo
	ds_read2_b32 v[10:11], v10 offset0:64 offset1:160
	v_mov_b32_e32 v43, v21
	v_add_co_u32 v0, vcc_lo, v2, v0
	v_lshlrev_b64 v[12:13], 2, v[20:21]
	v_add_co_ci_u32_e32 v1, vcc_lo, v3, v1, vcc_lo
	v_lshlrev_b64 v[14:15], 2, v[42:43]
	v_mov_b32_e32 v41, v21
	v_mov_b32_e32 v39, v21
	;; [unrolled: 1-line block ×6, first 2 shown]
	s_waitcnt lgkmcnt(3)
	global_store_dword v[0:1], v4, off
	global_store_dword v[0:1], v5, off offset:384
	s_waitcnt lgkmcnt(2)
	global_store_dword v[0:1], v6, off offset:768
	global_store_dword v[0:1], v7, off offset:1152
	s_waitcnt lgkmcnt(1)
	global_store_dword v[0:1], v8, off offset:1536
	global_store_dword v[0:1], v9, off offset:1920
	v_add_co_u32 v0, vcc_lo, v2, v12
	v_add_co_ci_u32_e32 v1, vcc_lo, v3, v13, vcc_lo
	v_add_co_u32 v4, vcc_lo, v2, v14
	v_add_co_ci_u32_e32 v5, vcc_lo, v3, v15, vcc_lo
	v_add_nc_u32_e32 v6, 0xc00, v25
	v_add_nc_u32_e32 v8, 0xe00, v25
	s_waitcnt lgkmcnt(0)
	global_store_dword v[0:1], v10, off
	global_store_dword v[4:5], v11, off
	v_lshlrev_b64 v[0:1], 2, v[40:41]
	ds_read2_b32 v[4:5], v6 offset1:96
	ds_read2_b32 v[8:9], v8 offset0:64 offset1:160
	v_lshlrev_b64 v[6:7], 2, v[38:39]
	v_add_nc_u32_e32 v12, 0x1000, v25
	v_lshlrev_b64 v[10:11], 2, v[34:35]
	v_add_co_u32 v0, vcc_lo, v2, v0
	v_add_co_ci_u32_e32 v1, vcc_lo, v3, v1, vcc_lo
	v_add_co_u32 v6, vcc_lo, v2, v6
	ds_read2_b32 v[12:13], v12 offset0:128 offset1:224
	v_add_co_ci_u32_e32 v7, vcc_lo, v3, v7, vcc_lo
	v_add_co_u32 v10, vcc_lo, v2, v10
	v_add_co_ci_u32_e32 v11, vcc_lo, v3, v11, vcc_lo
	v_lshlrev_b64 v[14:15], 2, v[32:33]
	s_waitcnt lgkmcnt(2)
	global_store_dword v[0:1], v4, off
	global_store_dword v[6:7], v5, off
	s_waitcnt lgkmcnt(1)
	global_store_dword v[10:11], v8, off
	v_lshlrev_b64 v[0:1], 2, v[30:31]
	v_add_nc_u32_e32 v6, 0x1400, v25
	v_mov_b32_e32 v29, v21
	v_add_co_u32 v4, vcc_lo, v2, v14
	v_add_co_ci_u32_e32 v5, vcc_lo, v3, v15, vcc_lo
	v_add_co_u32 v0, vcc_lo, v2, v0
	v_add_co_ci_u32_e32 v1, vcc_lo, v3, v1, vcc_lo
	global_store_dword v[4:5], v9, off
	v_lshlrev_b64 v[4:5], 2, v[26:27]
	v_add_nc_u32_e32 v20, 0x5a0, v22
	s_waitcnt lgkmcnt(0)
	global_store_dword v[0:1], v12, off
	ds_read2_b32 v[0:1], v6 offset0:64 offset1:160
	v_lshlrev_b64 v[6:7], 2, v[28:29]
	v_add_nc_u32_e32 v10, 0x1800, v25
	v_add_co_u32 v4, vcc_lo, v2, v4
	v_lshlrev_b64 v[8:9], 2, v[20:21]
	v_add_co_ci_u32_e32 v5, vcc_lo, v3, v5, vcc_lo
	v_add_co_u32 v6, vcc_lo, v2, v6
	v_mov_b32_e32 v47, v21
	ds_read2_b32 v[10:11], v10 offset1:96
	v_add_co_ci_u32_e32 v7, vcc_lo, v3, v7, vcc_lo
	v_add_co_u32 v8, vcc_lo, v2, v8
	v_add_nc_u32_e32 v20, 0x660, v22
	v_add_co_ci_u32_e32 v9, vcc_lo, v3, v9, vcc_lo
	v_lshlrev_b64 v[14:15], 2, v[46:47]
	global_store_dword v[4:5], v13, off
	s_waitcnt lgkmcnt(1)
	global_store_dword v[6:7], v0, off
	global_store_dword v[8:9], v1, off
	v_lshlrev_b64 v[0:1], 2, v[20:21]
	v_add_nc_u32_e32 v8, 0x1a00, v25
	v_add_nc_u32_e32 v20, 0x6c0, v22
	;; [unrolled: 1-line block ×3, first 2 shown]
	v_add_co_u32 v4, vcc_lo, v2, v14
	v_add_co_ci_u32_e32 v5, vcc_lo, v3, v15, vcc_lo
	v_add_co_u32 v0, vcc_lo, v2, v0
	v_add_co_ci_u32_e32 v1, vcc_lo, v3, v1, vcc_lo
	v_lshlrev_b64 v[6:7], 2, v[20:21]
	v_add_nc_u32_e32 v20, 0x720, v22
	v_mov_b32_e32 v45, v21
	s_waitcnt lgkmcnt(0)
	global_store_dword v[0:1], v11, off
	ds_read2_b32 v[0:1], v8 offset0:64 offset1:160
	ds_read2_b32 v[8:9], v9 offset0:128 offset1:224
	global_store_dword v[4:5], v10, off
	v_lshlrev_b64 v[4:5], 2, v[20:21]
	v_add_co_u32 v6, vcc_lo, v2, v6
	v_lshlrev_b64 v[10:11], 2, v[44:45]
	v_add_co_ci_u32_e32 v7, vcc_lo, v3, v7, vcc_lo
	v_add_co_u32 v4, vcc_lo, v2, v4
	v_add_co_ci_u32_e32 v5, vcc_lo, v3, v5, vcc_lo
	v_add_nc_u32_e32 v20, 0x7e0, v22
	v_add_co_u32 v10, vcc_lo, v2, v10
	v_add_nc_u32_e32 v14, 0x2000, v25
	v_add_co_ci_u32_e32 v11, vcc_lo, v3, v11, vcc_lo
	v_lshlrev_b64 v[12:13], 2, v[20:21]
	v_add_nc_u32_e32 v20, 0x840, v22
	s_waitcnt lgkmcnt(1)
	global_store_dword v[6:7], v0, off
	global_store_dword v[4:5], v1, off
	s_waitcnt lgkmcnt(0)
	global_store_dword v[10:11], v8, off
	ds_read2_b32 v[0:1], v14 offset0:64 offset1:160
	v_add_nc_u32_e32 v8, 0x2400, v25
	v_mov_b32_e32 v37, v21
	v_lshlrev_b64 v[4:5], 2, v[20:21]
	v_add_nc_u32_e32 v20, 0x8a0, v22
	v_add_co_u32 v6, vcc_lo, v2, v12
	v_add_co_ci_u32_e32 v7, vcc_lo, v3, v13, vcc_lo
	v_lshlrev_b64 v[10:11], 2, v[20:21]
	v_add_co_u32 v4, vcc_lo, v2, v4
	ds_read2_b32 v[12:13], v8 offset1:96
	v_add_co_ci_u32_e32 v5, vcc_lo, v3, v5, vcc_lo
	v_add_co_u32 v10, vcc_lo, v2, v10
	v_add_nc_u32_e32 v20, 0x960, v22
	v_add_co_ci_u32_e32 v11, vcc_lo, v3, v11, vcc_lo
	v_lshlrev_b64 v[14:15], 2, v[36:37]
	global_store_dword v[6:7], v9, off
	s_waitcnt lgkmcnt(1)
	global_store_dword v[4:5], v0, off
	global_store_dword v[10:11], v1, off
	v_lshlrev_b64 v[0:1], 2, v[20:21]
	v_add_nc_u32_e32 v20, 0x9c0, v22
	v_add_nc_u32_e32 v8, 0x2600, v25
	;; [unrolled: 1-line block ×3, first 2 shown]
	v_add_co_u32 v4, vcc_lo, v2, v14
	v_add_co_ci_u32_e32 v5, vcc_lo, v3, v15, vcc_lo
	v_add_co_u32 v0, vcc_lo, v2, v0
	v_add_co_ci_u32_e32 v1, vcc_lo, v3, v1, vcc_lo
	v_lshlrev_b64 v[6:7], 2, v[20:21]
	v_add_nc_u32_e32 v20, 0xa20, v22
	v_mov_b32_e32 v25, v21
	s_waitcnt lgkmcnt(0)
	global_store_dword v[4:5], v12, off
	global_store_dword v[0:1], v13, off
	ds_read2_b32 v[0:1], v8 offset0:64 offset1:160
	v_lshlrev_b64 v[4:5], 2, v[20:21]
	v_add_nc_u32_e32 v20, 0xae0, v22
	ds_read2_b32 v[8:9], v9 offset0:128 offset1:224
	v_add_co_u32 v6, vcc_lo, v2, v6
	v_lshlrev_b64 v[10:11], 2, v[24:25]
	v_add_co_ci_u32_e32 v7, vcc_lo, v3, v7, vcc_lo
	v_add_co_u32 v4, vcc_lo, v2, v4
	v_lshlrev_b64 v[12:13], 2, v[20:21]
	v_add_co_ci_u32_e32 v5, vcc_lo, v3, v5, vcc_lo
	v_add_co_u32 v10, vcc_lo, v2, v10
	v_add_co_ci_u32_e32 v11, vcc_lo, v3, v11, vcc_lo
	v_add_co_u32 v12, vcc_lo, v2, v12
	v_add_co_ci_u32_e32 v13, vcc_lo, v3, v13, vcc_lo
	v_cmp_eq_u32_e32 vcc_lo, 0x5f, v22
	s_waitcnt lgkmcnt(1)
	global_store_dword v[6:7], v0, off
	global_store_dword v[4:5], v1, off
	s_waitcnt lgkmcnt(0)
	global_store_dword v[10:11], v8, off
	global_store_dword v[12:13], v9, off
	s_and_b32 exec_lo, exec_lo, vcc_lo
	s_cbranch_execz .LBB0_20
; %bb.19:
	ds_read_b32 v4, v21 offset:11520
	v_add_co_u32 v0, vcc_lo, 0x2800, v2
	v_add_co_ci_u32_e32 v1, vcc_lo, 0, v3, vcc_lo
	s_waitcnt lgkmcnt(0)
	global_store_dword v[0:1], v4, off offset:1280
.LBB0_20:
	s_endpgm
	.section	.rodata,"a",@progbits
	.p2align	6, 0x0
	.amdhsa_kernel fft_rtc_back_len2880_factors_10_6_6_2_2_2_wgs_96_tpt_96_halfLds_half_ip_CI_unitstride_sbrr_R2C_dirReg
		.amdhsa_group_segment_fixed_size 0
		.amdhsa_private_segment_fixed_size 0
		.amdhsa_kernarg_size 88
		.amdhsa_user_sgpr_count 6
		.amdhsa_user_sgpr_private_segment_buffer 1
		.amdhsa_user_sgpr_dispatch_ptr 0
		.amdhsa_user_sgpr_queue_ptr 0
		.amdhsa_user_sgpr_kernarg_segment_ptr 1
		.amdhsa_user_sgpr_dispatch_id 0
		.amdhsa_user_sgpr_flat_scratch_init 0
		.amdhsa_user_sgpr_private_segment_size 0
		.amdhsa_wavefront_size32 1
		.amdhsa_uses_dynamic_stack 0
		.amdhsa_system_sgpr_private_segment_wavefront_offset 0
		.amdhsa_system_sgpr_workgroup_id_x 1
		.amdhsa_system_sgpr_workgroup_id_y 0
		.amdhsa_system_sgpr_workgroup_id_z 0
		.amdhsa_system_sgpr_workgroup_info 0
		.amdhsa_system_vgpr_workitem_id 0
		.amdhsa_next_free_vgpr 151
		.amdhsa_next_free_sgpr 21
		.amdhsa_reserve_vcc 1
		.amdhsa_reserve_flat_scratch 0
		.amdhsa_float_round_mode_32 0
		.amdhsa_float_round_mode_16_64 0
		.amdhsa_float_denorm_mode_32 3
		.amdhsa_float_denorm_mode_16_64 3
		.amdhsa_dx10_clamp 1
		.amdhsa_ieee_mode 1
		.amdhsa_fp16_overflow 0
		.amdhsa_workgroup_processor_mode 1
		.amdhsa_memory_ordered 1
		.amdhsa_forward_progress 0
		.amdhsa_shared_vgpr_count 0
		.amdhsa_exception_fp_ieee_invalid_op 0
		.amdhsa_exception_fp_denorm_src 0
		.amdhsa_exception_fp_ieee_div_zero 0
		.amdhsa_exception_fp_ieee_overflow 0
		.amdhsa_exception_fp_ieee_underflow 0
		.amdhsa_exception_fp_ieee_inexact 0
		.amdhsa_exception_int_div_zero 0
	.end_amdhsa_kernel
	.text
.Lfunc_end0:
	.size	fft_rtc_back_len2880_factors_10_6_6_2_2_2_wgs_96_tpt_96_halfLds_half_ip_CI_unitstride_sbrr_R2C_dirReg, .Lfunc_end0-fft_rtc_back_len2880_factors_10_6_6_2_2_2_wgs_96_tpt_96_halfLds_half_ip_CI_unitstride_sbrr_R2C_dirReg
                                        ; -- End function
	.section	.AMDGPU.csdata,"",@progbits
; Kernel info:
; codeLenInByte = 23356
; NumSgprs: 23
; NumVgprs: 151
; ScratchSize: 0
; MemoryBound: 0
; FloatMode: 240
; IeeeMode: 1
; LDSByteSize: 0 bytes/workgroup (compile time only)
; SGPRBlocks: 2
; VGPRBlocks: 18
; NumSGPRsForWavesPerEU: 23
; NumVGPRsForWavesPerEU: 151
; Occupancy: 6
; WaveLimiterHint : 1
; COMPUTE_PGM_RSRC2:SCRATCH_EN: 0
; COMPUTE_PGM_RSRC2:USER_SGPR: 6
; COMPUTE_PGM_RSRC2:TRAP_HANDLER: 0
; COMPUTE_PGM_RSRC2:TGID_X_EN: 1
; COMPUTE_PGM_RSRC2:TGID_Y_EN: 0
; COMPUTE_PGM_RSRC2:TGID_Z_EN: 0
; COMPUTE_PGM_RSRC2:TIDIG_COMP_CNT: 0
	.text
	.p2alignl 6, 3214868480
	.fill 48, 4, 3214868480
	.type	__hip_cuid_ecbbda5d8abca0b5,@object ; @__hip_cuid_ecbbda5d8abca0b5
	.section	.bss,"aw",@nobits
	.globl	__hip_cuid_ecbbda5d8abca0b5
__hip_cuid_ecbbda5d8abca0b5:
	.byte	0                               ; 0x0
	.size	__hip_cuid_ecbbda5d8abca0b5, 1

	.ident	"AMD clang version 19.0.0git (https://github.com/RadeonOpenCompute/llvm-project roc-6.4.0 25133 c7fe45cf4b819c5991fe208aaa96edf142730f1d)"
	.section	".note.GNU-stack","",@progbits
	.addrsig
	.addrsig_sym __hip_cuid_ecbbda5d8abca0b5
	.amdgpu_metadata
---
amdhsa.kernels:
  - .args:
      - .actual_access:  read_only
        .address_space:  global
        .offset:         0
        .size:           8
        .value_kind:     global_buffer
      - .offset:         8
        .size:           8
        .value_kind:     by_value
      - .actual_access:  read_only
        .address_space:  global
        .offset:         16
        .size:           8
        .value_kind:     global_buffer
      - .actual_access:  read_only
        .address_space:  global
        .offset:         24
        .size:           8
        .value_kind:     global_buffer
      - .offset:         32
        .size:           8
        .value_kind:     by_value
      - .actual_access:  read_only
        .address_space:  global
        .offset:         40
        .size:           8
        .value_kind:     global_buffer
      - .actual_access:  read_only
        .address_space:  global
        .offset:         48
        .size:           8
        .value_kind:     global_buffer
      - .offset:         56
        .size:           4
        .value_kind:     by_value
      - .actual_access:  read_only
        .address_space:  global
        .offset:         64
        .size:           8
        .value_kind:     global_buffer
      - .actual_access:  read_only
        .address_space:  global
        .offset:         72
        .size:           8
        .value_kind:     global_buffer
      - .address_space:  global
        .offset:         80
        .size:           8
        .value_kind:     global_buffer
    .group_segment_fixed_size: 0
    .kernarg_segment_align: 8
    .kernarg_segment_size: 88
    .language:       OpenCL C
    .language_version:
      - 2
      - 0
    .max_flat_workgroup_size: 96
    .name:           fft_rtc_back_len2880_factors_10_6_6_2_2_2_wgs_96_tpt_96_halfLds_half_ip_CI_unitstride_sbrr_R2C_dirReg
    .private_segment_fixed_size: 0
    .sgpr_count:     23
    .sgpr_spill_count: 0
    .symbol:         fft_rtc_back_len2880_factors_10_6_6_2_2_2_wgs_96_tpt_96_halfLds_half_ip_CI_unitstride_sbrr_R2C_dirReg.kd
    .uniform_work_group_size: 1
    .uses_dynamic_stack: false
    .vgpr_count:     151
    .vgpr_spill_count: 0
    .wavefront_size: 32
    .workgroup_processor_mode: 1
amdhsa.target:   amdgcn-amd-amdhsa--gfx1030
amdhsa.version:
  - 1
  - 2
...

	.end_amdgpu_metadata
